;; amdgpu-corpus repo=ROCm/rocFFT kind=compiled arch=gfx1030 opt=O3
	.text
	.amdgcn_target "amdgcn-amd-amdhsa--gfx1030"
	.amdhsa_code_object_version 6
	.protected	bluestein_single_fwd_len1078_dim1_sp_op_CI_CI ; -- Begin function bluestein_single_fwd_len1078_dim1_sp_op_CI_CI
	.globl	bluestein_single_fwd_len1078_dim1_sp_op_CI_CI
	.p2align	8
	.type	bluestein_single_fwd_len1078_dim1_sp_op_CI_CI,@function
bluestein_single_fwd_len1078_dim1_sp_op_CI_CI: ; @bluestein_single_fwd_len1078_dim1_sp_op_CI_CI
; %bb.0:
	s_load_dwordx4 s[8:11], s[4:5], 0x28
	v_mul_u32_u24_e32 v1, 0x354, v0
	v_lshrrev_b32_e32 v1, 16, v1
	v_mad_u64_u32 v[140:141], null, s6, 3, v[1:2]
	v_mov_b32_e32 v141, 0
                                        ; kill: def $vgpr2 killed $sgpr0 killed $exec
	s_mov_b32 s0, exec_lo
	s_waitcnt lgkmcnt(0)
	v_cmpx_gt_u64_e64 s[8:9], v[140:141]
	s_cbranch_execz .LBB0_10
; %bb.1:
	s_clause 0x1
	s_load_dwordx4 s[0:3], s[4:5], 0x18
	s_load_dwordx4 s[12:15], s[4:5], 0x0
	v_mul_lo_u16 v1, 0x4d, v1
	s_load_dwordx2 s[4:5], s[4:5], 0x38
                                        ; implicit-def: $vgpr66
                                        ; implicit-def: $vgpr70
                                        ; implicit-def: $vgpr84
                                        ; implicit-def: $vgpr80
                                        ; implicit-def: $vgpr76
	v_sub_nc_u16 v0, v0, v1
	v_and_b32_e32 v163, 0xffff, v0
	v_lshlrev_b16 v37, 1, v0
	v_lshlrev_b32_e32 v35, 3, v163
	s_waitcnt lgkmcnt(0)
	s_load_dwordx4 s[16:19], s[0:1], 0x0
	s_clause 0x3
	global_load_dwordx2 v[155:156], v35, s[12:13]
	global_load_dwordx2 v[151:152], v35, s[12:13] offset:616
	global_load_dwordx2 v[147:148], v35, s[12:13] offset:1232
	;; [unrolled: 1-line block ×3, first 2 shown]
	v_add_co_u32 v9, s0, s12, v35
	v_add_co_ci_u32_e64 v10, null, s13, 0, s0
	v_add_co_u32 v5, vcc_lo, 0x1000, v9
	v_add_co_ci_u32_e32 v6, vcc_lo, 0, v10, vcc_lo
	v_add_co_u32 v7, vcc_lo, 0x1800, v9
	v_add_co_ci_u32_e32 v8, vcc_lo, 0, v10, vcc_lo
	;; [unrolled: 2-line block ×3, first 2 shown]
	s_waitcnt lgkmcnt(0)
	v_mad_u64_u32 v[1:2], null, s18, v140, 0
	v_mad_u64_u32 v[3:4], null, s16, v163, 0
	s_mul_i32 s0, s17, 0x10d8
	s_mul_hi_u32 s1, s16, 0x10d8
	s_mul_i32 s6, s16, 0x10d8
	s_add_i32 s1, s1, s0
	s_mul_hi_u32 s8, s16, 0xfffff190
	s_mul_i32 s7, s17, 0xfffff190
	v_mad_u64_u32 v[11:12], null, s19, v140, v[2:3]
	v_mad_u64_u32 v[12:13], null, s17, v163, v[4:5]
	s_mul_i32 s9, s16, 0xfffff190
	s_sub_i32 s0, s8, s16
	s_clause 0x4
	global_load_dwordx2 v[159:160], v[5:6], off offset:216
	global_load_dwordx2 v[157:158], v[5:6], off offset:832
	;; [unrolled: 1-line block ×5, first 2 shown]
	s_add_i32 s0, s0, s7
	v_mov_b32_e32 v2, v11
	s_clause 0x2
	global_load_dwordx2 v[149:150], v[7:8], off offset:16
	global_load_dwordx2 v[138:139], v[7:8], off offset:632
	;; [unrolled: 1-line block ×3, first 2 shown]
	v_mov_b32_e32 v4, v12
	v_lshlrev_b64 v[1:2], 3, v[1:2]
	v_lshlrev_b64 v[3:4], 3, v[3:4]
	v_add_co_u32 v1, vcc_lo, s10, v1
	v_add_co_ci_u32_e32 v2, vcc_lo, s11, v2, vcc_lo
	v_add_co_u32 v1, vcc_lo, v1, v3
	v_add_co_ci_u32_e32 v2, vcc_lo, v2, v4, vcc_lo
	;; [unrolled: 2-line block ×3, first 2 shown]
	s_clause 0x1
	global_load_dwordx2 v[13:14], v[1:2], off
	global_load_dwordx2 v[15:16], v[3:4], off
	v_add_co_u32 v5, vcc_lo, v3, s9
	v_add_co_ci_u32_e32 v6, vcc_lo, s0, v4, vcc_lo
	v_add_co_u32 v11, vcc_lo, v5, s6
	v_add_co_ci_u32_e32 v12, vcc_lo, s1, v6, vcc_lo
	global_load_dwordx2 v[4:5], v[5:6], off
	v_add_co_u32 v1, vcc_lo, v11, s9
	v_add_co_ci_u32_e32 v2, vcc_lo, s0, v12, vcc_lo
	s_clause 0x1
	global_load_dwordx2 v[11:12], v[11:12], off
	global_load_dwordx2 v[19:20], v[1:2], off
	v_add_co_u32 v17, vcc_lo, v1, s6
	v_add_co_ci_u32_e32 v18, vcc_lo, s1, v2, vcc_lo
	v_add_co_u32 v1, vcc_lo, v17, s9
	v_add_co_ci_u32_e32 v2, vcc_lo, s0, v18, vcc_lo
	global_load_dwordx2 v[17:18], v[17:18], off
	v_add_co_u32 v21, vcc_lo, v1, s6
	v_add_co_ci_u32_e32 v22, vcc_lo, s1, v2, vcc_lo
	global_load_dwordx2 v[23:24], v[1:2], off
	;; [unrolled: 3-line block ×7, first 2 shown]
	v_add_co_u32 v33, vcc_lo, v1, s6
	v_add_co_ci_u32_e32 v34, vcc_lo, s1, v2, vcc_lo
	global_load_dwordx2 v[143:144], v[9:10], off offset:1648
	global_load_dwordx2 v[9:10], v[1:2], off
	global_load_dwordx2 v[145:146], v[7:8], off offset:1864
	global_load_dwordx2 v[6:7], v[33:34], off
	v_mul_hi_u32 v1, 0xaaaaaaab, v140
	s_load_dwordx4 s[8:11], s[2:3], 0x0
	v_add_co_u32 v86, s0, 0x4d, v163
	v_cmp_gt_u16_e32 vcc_lo, 21, v0
	v_lshrrev_b32_e32 v1, 1, v1
	v_lshl_add_u32 v1, v1, 1, v1
	v_sub_nc_u32_e32 v1, v140, v1
	v_mul_u32_u24_e32 v1, 0x436, v1
	v_lshlrev_b32_e32 v165, 3, v1
	v_add_nc_u32_e32 v164, v35, v165
	v_lshl_add_u32 v113, v86, 4, v165
	v_lshl_add_u32 v87, v163, 4, v165
	v_add_nc_u32_e32 v2, 0x1000, v164
	v_add_nc_u32_e32 v1, 0x1800, v164
	;; [unrolled: 1-line block ×3, first 2 shown]
	s_waitcnt vmcnt(15)
	v_mul_f32_e32 v33, v14, v156
	v_mul_f32_e32 v8, v13, v156
	s_waitcnt vmcnt(14)
	v_mul_f32_e32 v36, v15, v160
	v_fmac_f32_e32 v33, v13, v155
	v_mul_f32_e32 v13, v16, v160
	v_fma_f32 v34, v14, v155, -v8
	v_fma_f32 v14, v16, v159, -v36
	s_waitcnt vmcnt(13)
	v_mul_f32_e32 v38, v4, v152
	v_mul_f32_e32 v35, v5, v152
	v_fmac_f32_e32 v13, v15, v159
	v_fma_f32 v36, v5, v151, -v38
	s_waitcnt vmcnt(12)
	v_mul_f32_e32 v5, v11, v158
	v_mul_f32_e32 v15, v12, v158
	ds_write_b64 v164, v[13:14] offset:4312
	v_fmac_f32_e32 v35, v4, v151
	s_waitcnt vmcnt(11)
	v_mul_f32_e32 v13, v20, v148
	v_fma_f32 v16, v12, v157, -v5
	v_mul_f32_e32 v5, v19, v148
	v_fmac_f32_e32 v15, v11, v157
	ds_write2_b64 v164, v[33:34], v[35:36] offset1:77
	v_fmac_f32_e32 v13, v19, v147
	v_add_nc_u32_e32 v4, 0xc00, v164
	s_waitcnt vmcnt(10)
	v_mul_f32_e32 v11, v18, v154
	v_mul_f32_e32 v8, v17, v154
	v_fma_f32 v14, v20, v147, -v5
	v_and_b32_e32 v33, 0xffff, v37
	v_add_co_ci_u32_e64 v34, null, 0, 0, s0
	s_waitcnt vmcnt(9)
	v_mul_f32_e32 v5, v23, v142
	v_fmac_f32_e32 v11, v17, v153
	v_fma_f32 v12, v18, v153, -v8
	v_mul_f32_e32 v17, v24, v142
	s_waitcnt vmcnt(8)
	v_mul_f32_e32 v8, v21, v150
	v_fma_f32 v18, v24, v141, -v5
	v_lshl_add_u32 v112, v33, 3, v165
	ds_write2_b64 v2, v[15:16], v[11:12] offset0:104 offset1:181
	v_mul_f32_e32 v11, v22, v150
	s_waitcnt vmcnt(7)
	v_mul_f32_e32 v5, v27, v133
	v_fma_f32 v12, v22, v149, -v8
	v_mul_f32_e32 v15, v28, v133
	v_fmac_f32_e32 v17, v23, v141
	v_fmac_f32_e32 v11, v21, v149
	s_waitcnt vmcnt(6)
	v_mul_f32_e32 v19, v26, v139
	v_fma_f32 v16, v28, v132, -v5
	v_mul_f32_e32 v5, v25, v139
	v_fmac_f32_e32 v15, v27, v132
	v_add_nc_u32_e32 v35, 0x400, v164
	s_waitcnt vmcnt(5)
	v_mul_f32_e32 v8, v31, v137
	v_mul_f32_e32 v21, v32, v137
	v_fmac_f32_e32 v19, v25, v138
	v_fma_f32 v20, v26, v138, -v5
	v_fma_f32 v22, v32, v136, -v8
	s_waitcnt vmcnt(4)
	v_mul_f32_e32 v23, v30, v135
	v_mul_f32_e32 v24, v29, v135
	s_waitcnt vmcnt(2)
	v_mul_f32_e32 v8, v10, v144
	v_mul_f32_e32 v25, v9, v144
	;; [unrolled: 3-line block ×3, first 2 shown]
	v_fmac_f32_e32 v21, v31, v136
	v_fmac_f32_e32 v8, v9, v143
	v_fma_f32 v9, v10, v143, -v25
	v_fmac_f32_e32 v23, v29, v134
	v_fma_f32 v24, v30, v134, -v24
	v_fmac_f32_e32 v5, v6, v145
	v_fma_f32 v6, v7, v145, -v26
	ds_write2_b64 v164, v[13:14], v[17:18] offset0:154 offset1:231
	ds_write2_b64 v1, v[11:12], v[19:20] offset0:2 offset1:79
	;; [unrolled: 1-line block ×3, first 2 shown]
	ds_write_b64 v164, v[8:9] offset:3696
	ds_write2_b64 v1, v[23:24], v[5:6] offset0:156 offset1:233
	s_waitcnt lgkmcnt(0)
	s_barrier
	buffer_gl0_inv
	ds_read2_b64 v[5:8], v164 offset1:77
	ds_read2_b64 v[9:12], v4 offset0:78 offset1:155
	ds_read2_b64 v[13:16], v2 offset0:104 offset1:181
	;; [unrolled: 1-line block ×6, first 2 shown]
	s_waitcnt lgkmcnt(0)
	s_barrier
	buffer_gl0_inv
	v_sub_f32_e32 v33, v5, v11
	v_sub_f32_e32 v34, v6, v12
	;; [unrolled: 1-line block ×14, first 2 shown]
	v_fma_f32 v31, v5, 2.0, -v33
	v_fma_f32 v32, v6, 2.0, -v34
	;; [unrolled: 1-line block ×14, first 2 shown]
	ds_write_b128 v112, v[31:34]
	ds_write_b128 v113, v[11:14]
	ds_write_b128 v87, v[42:45] offset:2464
	ds_write_b128 v87, v[19:22] offset:3696
	;; [unrolled: 1-line block ×5, first 2 shown]
	s_waitcnt lgkmcnt(0)
	s_barrier
	buffer_gl0_inv
	ds_read2_b64 v[42:45], v164 offset1:98
	ds_read2_b64 v[58:61], v35 offset0:68 offset1:166
	ds_read2_b64 v[54:57], v3 offset0:136 offset1:234
	;; [unrolled: 1-line block ×4, first 2 shown]
	ds_read_b64 v[82:83], v164 offset:7840
	s_and_saveexec_b32 s0, vcc_lo
	s_cbranch_execz .LBB0_3
; %bb.2:
	ds_read2_b64 v[74:77], v3 offset0:17 offset1:115
	ds_read2_b64 v[5:8], v164 offset0:77 offset1:175
	;; [unrolled: 1-line block ×5, first 2 shown]
	ds_read_b64 v[84:85], v164 offset:8456
	s_waitcnt lgkmcnt(5)
	v_mov_b32_e32 v64, v74
	v_mov_b32_e32 v65, v75
	s_waitcnt lgkmcnt(4)
	v_mov_b32_e32 v62, v7
	v_mov_b32_e32 v63, v8
	;; [unrolled: 1-line block ×4, first 2 shown]
.LBB0_3:
	s_or_b32 exec_lo, exec_lo, s0
	v_and_b32_e32 v74, 1, v163
	v_and_b32_e32 v166, 1, v86
	v_lshrrev_b32_e32 v75, 1, v163
	v_mul_u32_u24_e32 v0, 10, v74
	v_mul_u32_u24_e32 v1, 10, v166
	v_mul_u32_u24_e32 v75, 22, v75
	v_lshlrev_b32_e32 v0, 3, v0
	v_lshlrev_b32_e32 v16, 3, v1
	v_or_b32_e32 v74, v75, v74
	s_clause 0x9
	global_load_dwordx4 v[36:39], v0, s[14:15]
	global_load_dwordx4 v[32:35], v0, s[14:15] offset:16
	global_load_dwordx4 v[28:31], v0, s[14:15] offset:32
	;; [unrolled: 1-line block ×4, first 2 shown]
	global_load_dwordx4 v[8:11], v16, s[14:15]
	global_load_dwordx4 v[4:7], v16, s[14:15] offset:16
	global_load_dwordx4 v[0:3], v16, s[14:15] offset:32
	;; [unrolled: 1-line block ×4, first 2 shown]
	v_lshl_add_u32 v167, v74, 3, v165
	s_waitcnt vmcnt(0) lgkmcnt(0)
	s_barrier
	buffer_gl0_inv
	v_mul_f32_e32 v123, v83, v23
	v_mul_f32_e32 v114, v63, v9
	;; [unrolled: 1-line block ×20, first 2 shown]
	v_fmac_f32_e32 v99, v59, v38
	v_fma_f32 v59, v60, v32, -v100
	v_fma_f32 v60, v54, v34, -v102
	;; [unrolled: 1-line block ×4, first 2 shown]
	v_fmac_f32_e32 v125, v83, v22
	v_fmac_f32_e32 v124, v45, v36
	v_fma_f32 v45, v44, v36, -v126
	v_mul_f32_e32 v106, v51, v31
	v_mul_f32_e32 v108, v53, v25
	v_mul_f32_e32 v110, v47, v27
	v_mul_f32_e32 v97, v46, v27
	v_mul_f32_e32 v96, v48, v21
	v_mul_f32_e32 v119, v67, v3
	v_mul_f32_e32 v88, v68, v13
	v_mul_f32_e32 v121, v71, v15
	v_fma_f32 v58, v58, v38, -v98
	v_fmac_f32_e32 v101, v61, v32
	v_fma_f32 v61, v56, v28, -v104
	v_fmac_f32_e32 v105, v57, v28
	v_fmac_f32_e32 v107, v51, v30
	;; [unrolled: 1-line block ×3, first 2 shown]
	v_fma_f32 v104, v48, v20, -v111
	v_fmac_f32_e32 v94, v63, v8
	v_fma_f32 v53, v64, v10, -v115
	v_fmac_f32_e32 v93, v65, v10
	v_fmac_f32_e32 v89, v67, v2
	v_sub_f32_e32 v63, v124, v125
	v_add_f32_e32 v64, v45, v62
	v_sub_f32_e32 v65, v45, v62
	v_add_f32_e32 v45, v42, v45
	v_add_f32_e32 v67, v43, v124
	v_mul_f32_e32 v116, v77, v5
	v_mul_f32_e32 v117, v79, v7
	;; [unrolled: 1-line block ×8, first 2 shown]
	v_fmac_f32_e32 v103, v55, v34
	v_fma_f32 v98, v50, v30, -v106
	v_fma_f32 v100, v52, v24, -v108
	;; [unrolled: 1-line block ×3, first 2 shown]
	v_fmac_f32_e32 v97, v47, v26
	v_fmac_f32_e32 v96, v49, v20
	v_fma_f32 v49, v66, v2, -v119
	v_fmac_f32_e32 v88, v69, v12
	v_fma_f32 v47, v70, v14, -v121
	v_add_f32_e32 v66, v124, v125
	v_add_f32_e32 v69, v58, v104
	v_sub_f32_e32 v70, v58, v104
	v_sub_f32_e32 v82, v105, v107
	v_mul_f32_e32 v106, 0xbf0a6770, v63
	v_mul_f32_e32 v108, 0xbf68dda4, v63
	;; [unrolled: 1-line block ×7, first 2 shown]
	v_add_f32_e32 v58, v45, v58
	v_add_f32_e32 v67, v67, v99
	v_mul_f32_e32 v92, v76, v5
	v_mul_f32_e32 v91, v78, v7
	v_mul_f32_e32 v90, v80, v1
	v_mul_f32_e32 v95, v84, v19
	v_fma_f32 v52, v76, v4, -v116
	v_fma_f32 v51, v78, v6, -v117
	;; [unrolled: 1-line block ×4, first 2 shown]
	v_fmac_f32_e32 v75, v71, v14
	v_fma_f32 v46, v72, v16, -v122
	v_fmac_f32_e32 v74, v73, v16
	v_fma_f32 v44, v84, v18, -v127
	v_sub_f32_e32 v68, v99, v96
	v_add_f32_e32 v71, v99, v96
	v_sub_f32_e32 v72, v101, v97
	v_add_f32_e32 v73, v59, v102
	v_sub_f32_e32 v76, v59, v102
	v_sub_f32_e32 v78, v103, v109
	;; [unrolled: 1-line block ×3, first 2 shown]
	v_add_f32_e32 v83, v61, v98
	v_sub_f32_e32 v84, v61, v98
	v_mul_f32_e32 v116, 0xbf7d64f0, v65
	v_mul_f32_e32 v117, 0xbf4178ce, v65
	;; [unrolled: 1-line block ×10, first 2 shown]
	v_fma_f32 v184, 0x3f575c64, v64, -v106
	v_fmac_f32_e32 v106, 0x3f575c64, v64
	v_fma_f32 v185, 0x3ed4b147, v64, -v108
	v_fmac_f32_e32 v108, 0x3ed4b147, v64
	v_fma_f32 v186, 0xbe11bafb, v64, -v110
	v_fmac_f32_e32 v110, 0xbe11bafb, v64
	v_fma_f32 v187, 0xbf27a4f4, v64, -v111
	v_fmac_f32_e32 v111, 0xbf27a4f4, v64
	v_fma_f32 v188, 0xbf75a155, v64, -v63
	v_fmac_f32_e32 v63, 0xbf75a155, v64
	v_fmamk_f32 v64, v66, 0x3f575c64, v114
	v_fmamk_f32 v189, v66, 0x3ed4b147, v115
	v_add_f32_e32 v58, v58, v59
	v_add_f32_e32 v59, v67, v101
	v_fmac_f32_e32 v92, v77, v4
	v_fmac_f32_e32 v91, v79, v6
	v_fmac_f32_e32 v90, v81, v0
	v_fmac_f32_e32 v95, v85, v18
	v_add_f32_e32 v77, v101, v97
	v_add_f32_e32 v79, v60, v100
	;; [unrolled: 1-line block ×4, first 2 shown]
	v_mul_f32_e32 v118, 0xbf4178ce, v68
	v_mul_f32_e32 v120, 0x3e903f40, v72
	;; [unrolled: 1-line block ×33, first 2 shown]
	v_fma_f32 v114, 0x3f575c64, v66, -v114
	v_fma_f32 v115, 0x3ed4b147, v66, -v115
	v_fmamk_f32 v190, v66, 0xbe11bafb, v116
	v_fma_f32 v116, 0xbe11bafb, v66, -v116
	v_fmamk_f32 v191, v66, 0xbf27a4f4, v117
	;; [unrolled: 2-line block ×4, first 2 shown]
	v_fma_f32 v198, 0x3f575c64, v83, -v124
	v_fma_f32 v206, 0xbf27a4f4, v83, -v162
	v_fmamk_f32 v209, v71, 0x3ed4b147, v170
	v_fma_f32 v214, 0xbf75a155, v83, -v175
	v_fmac_f32_e32 v124, 0x3f575c64, v83
	v_fmac_f32_e32 v162, 0xbf27a4f4, v83
	v_fma_f32 v220, 0x3ed4b147, v83, -v182
	v_fmac_f32_e32 v182, 0x3ed4b147, v83
	v_fma_f32 v228, 0xbe11bafb, v83, -v82
	v_fmac_f32_e32 v175, 0xbf75a155, v83
	v_fmac_f32_e32 v82, 0xbe11bafb, v83
	v_add_f32_e32 v64, v43, v64
	v_add_f32_e32 v83, v42, v106
	;; [unrolled: 1-line block ×5, first 2 shown]
	v_fma_f32 v66, 0xbf27a4f4, v69, -v118
	v_fma_f32 v194, 0xbf75a155, v73, -v120
	v_fmamk_f32 v195, v77, 0xbf75a155, v121
	v_fma_f32 v196, 0xbe11bafb, v79, -v122
	v_fmamk_f32 v197, v81, 0xbe11bafb, v123
	v_fmamk_f32 v199, v85, 0x3f575c64, v126
	v_fma_f32 v200, 0xbf75a155, v69, -v127
	v_fmamk_f32 v201, v71, 0xbf75a155, v128
	v_fma_f32 v202, 0x3ed4b147, v73, -v129
	;; [unrolled: 2-line block ×3, first 2 shown]
	v_fmamk_f32 v205, v81, 0x3f575c64, v161
	v_fmamk_f32 v207, v85, 0xbf27a4f4, v168
	v_fma_f32 v208, 0x3ed4b147, v69, -v169
	v_fma_f32 v210, 0xbe11bafb, v73, -v171
	v_fmamk_f32 v211, v77, 0xbe11bafb, v172
	v_fma_f32 v212, 0xbf27a4f4, v79, -v173
	v_fmamk_f32 v213, v81, 0xbf27a4f4, v174
	v_fmamk_f32 v215, v85, 0xbf75a155, v176
	v_fmac_f32_e32 v118, 0xbf27a4f4, v69
	v_fma_f32 v67, 0xbf27a4f4, v71, -v119
	v_fmac_f32_e32 v120, 0xbf75a155, v73
	v_fma_f32 v101, 0xbf75a155, v77, -v121
	v_fmac_f32_e32 v122, 0xbe11bafb, v79
	v_fma_f32 v119, 0xbe11bafb, v81, -v123
	v_fma_f32 v121, 0x3f575c64, v85, -v126
	v_fmac_f32_e32 v127, 0xbf75a155, v69
	v_fma_f32 v123, 0xbf75a155, v71, -v128
	v_fmac_f32_e32 v129, 0x3ed4b147, v73
	;; [unrolled: 2-line block ×3, first 2 shown]
	v_fma_f32 v128, 0x3f575c64, v81, -v161
	v_fma_f32 v130, 0xbf27a4f4, v85, -v168
	;; [unrolled: 1-line block ×3, first 2 shown]
	v_fmamk_f32 v168, v71, 0xbe11bafb, v177
	v_fma_f32 v216, 0x3f575c64, v73, -v178
	v_fmamk_f32 v217, v77, 0x3f575c64, v179
	v_fma_f32 v218, 0xbf75a155, v79, -v180
	v_fmamk_f32 v219, v81, 0xbf75a155, v181
	v_fmamk_f32 v221, v85, 0x3ed4b147, v183
	v_fmac_f32_e32 v99, 0xbe11bafb, v69
	v_fma_f32 v177, 0xbe11bafb, v71, -v177
	v_fmac_f32_e32 v178, 0x3f575c64, v73
	v_fma_f32 v179, 0x3f575c64, v77, -v179
	;; [unrolled: 2-line block ×3, first 2 shown]
	v_fma_f32 v183, 0x3ed4b147, v85, -v183
	v_fma_f32 v222, 0x3f575c64, v69, -v68
	v_fmamk_f32 v223, v71, 0x3f575c64, v70
	v_fma_f32 v224, 0xbf27a4f4, v73, -v72
	v_fmamk_f32 v225, v77, 0xbf27a4f4, v76
	;; [unrolled: 2-line block ×3, first 2 shown]
	v_fmamk_f32 v229, v85, 0xbe11bafb, v84
	v_fmac_f32_e32 v169, 0x3ed4b147, v69
	v_fmac_f32_e32 v68, 0x3f575c64, v69
	v_fma_f32 v69, 0x3ed4b147, v71, -v170
	v_fma_f32 v70, 0x3f575c64, v71, -v70
	v_fmac_f32_e32 v171, 0xbe11bafb, v73
	v_fmac_f32_e32 v72, 0xbf27a4f4, v73
	v_fma_f32 v71, 0xbe11bafb, v77, -v172
	v_fma_f32 v73, 0xbf27a4f4, v77, -v76
	;; [unrolled: 4-line block ×3, first 2 shown]
	v_fma_f32 v80, 0xbf75a155, v85, -v176
	v_fma_f32 v79, 0xbe11bafb, v85, -v84
	v_add_f32_e32 v81, v42, v184
	v_add_f32_e32 v84, v43, v114
	;; [unrolled: 1-line block ×69, first 2 shown]
	v_sub_f32_e32 v56, v54, v44
	v_add_f32_e32 v100, v226, v101
	v_add_f32_e32 v101, v227, v103
	;; [unrolled: 1-line block ×13, first 2 shown]
	ds_write2_b64 v167, v[42:43], v[58:59] offset0:4 offset1:6
	ds_write2_b64 v167, v[62:63], v[60:61] offset1:2
	v_add_f32_e32 v69, v94, v95
	v_mul_f32_e32 v43, 0xbf0a6770, v56
	v_sub_f32_e32 v83, v53, v46
	v_sub_f32_e32 v57, v94, v95
	v_add_f32_e32 v70, v129, v85
	v_add_f32_e32 v85, v217, v106
	;; [unrolled: 1-line block ×4, first 2 shown]
	v_fma_f32 v61, 0x3f575c64, v69, -v43
	v_add_f32_e32 v72, v93, v74
	v_mul_f32_e32 v59, 0xbf68dda4, v83
	v_sub_f32_e32 v101, v52, v47
	v_add_f32_e32 v55, v54, v44
	v_mul_f32_e32 v45, 0xbf0a6770, v57
	v_add_f32_e32 v85, v219, v85
	v_add_f32_e32 v120, v130, v81
	;; [unrolled: 1-line block ×4, first 2 shown]
	v_fma_f32 v64, 0x3ed4b147, v72, -v59
	v_add_f32_e32 v79, v92, v75
	v_mul_f32_e32 v61, 0xbf7d64f0, v101
	v_sub_f32_e32 v114, v51, v48
	v_add_f32_e32 v98, v178, v99
	v_add_f32_e32 v67, v119, v67
	;; [unrolled: 1-line block ×3, first 2 shown]
	v_fmamk_f32 v42, v55, 0x3f575c64, v45
	v_add_f32_e32 v129, v82, v76
	v_sub_f32_e32 v82, v93, v74
	v_add_f32_e32 v64, v64, v63
	v_fma_f32 v66, 0xbe11bafb, v79, -v61
	v_add_f32_e32 v85, v91, v88
	v_mul_f32_e32 v63, 0xbf4178ce, v114
	v_add_f32_e32 v105, v161, v172
	v_add_f32_e32 v108, v177, v117
	;; [unrolled: 1-line block ×8, first 2 shown]
	v_mul_f32_e32 v42, 0xbf68dda4, v82
	v_sub_f32_e32 v100, v92, v75
	v_add_f32_e32 v64, v66, v64
	v_fma_f32 v67, 0xbf27a4f4, v85, -v63
	v_mul_f32_e32 v97, 0xbf68dda4, v57
	v_add_f32_e32 v84, v216, v105
	v_add_f32_e32 v99, v179, v108
	;; [unrolled: 1-line block ×4, first 2 shown]
	v_fmamk_f32 v62, v73, 0x3ed4b147, v42
	v_add_f32_e32 v76, v52, v47
	v_mul_f32_e32 v58, 0xbf7d64f0, v100
	v_sub_f32_e32 v102, v91, v88
	v_add_f32_e32 v64, v67, v64
	v_fmamk_f32 v67, v55, 0x3ed4b147, v97
	v_mul_f32_e32 v98, 0xbf4178ce, v82
	v_mul_f32_e32 v105, 0xbf68dda4, v56
	v_add_f32_e32 v84, v218, v84
	v_add_f32_e32 v99, v181, v99
	;; [unrolled: 1-line block ×4, first 2 shown]
	v_fmamk_f32 v65, v76, 0xbe11bafb, v58
	v_add_f32_e32 v96, v51, v48
	v_mul_f32_e32 v60, 0xbf4178ce, v102
	v_sub_f32_e32 v115, v90, v89
	v_add_f32_e32 v128, v80, v103
	v_sub_f32_e32 v103, v50, v49
	v_add_f32_e32 v67, v40, v67
	v_fmamk_f32 v70, v73, 0xbf27a4f4, v98
	v_fma_f32 v71, 0x3ed4b147, v69, -v105
	v_mul_f32_e32 v106, 0xbf4178ce, v83
	v_add_f32_e32 v121, v220, v84
	v_add_f32_e32 v124, v183, v99
	;; [unrolled: 1-line block ×3, first 2 shown]
	v_fmamk_f32 v66, v96, 0xbf27a4f4, v60
	v_add_f32_e32 v84, v50, v49
	v_mul_f32_e32 v62, 0xbe903f40, v115
	v_add_f32_e32 v99, v90, v89
	v_mul_f32_e32 v68, 0xbe903f40, v103
	v_add_f32_e32 v67, v70, v67
	v_add_f32_e32 v70, v41, v71
	v_fma_f32 v71, 0xbf27a4f4, v72, -v106
	v_mul_f32_e32 v108, 0x3e903f40, v101
	v_add_f32_e32 v65, v66, v65
	v_fmamk_f32 v66, v84, 0xbf75a155, v62
	v_mul_f32_e32 v104, 0x3e903f40, v100
	v_fma_f32 v80, 0xbf75a155, v99, -v68
	v_add_f32_e32 v70, v71, v70
	v_fma_f32 v71, 0xbf75a155, v79, -v108
	v_mul_f32_e32 v107, 0x3f7d64f0, v114
	v_fmamk_f32 v77, v76, 0xbf75a155, v104
	v_mul_f32_e32 v78, 0x3f7d64f0, v102
	v_add_f32_e32 v161, v66, v65
	v_add_f32_e32 v162, v80, v64
	;; [unrolled: 1-line block ×3, first 2 shown]
	v_fma_f32 v65, 0xbe11bafb, v85, -v107
	v_add_f32_e32 v67, v77, v67
	v_fmamk_f32 v77, v96, 0xbe11bafb, v78
	v_mul_f32_e32 v70, 0xbf7d64f0, v57
	v_mul_f32_e32 v109, 0x3f0a6770, v103
	v_add_f32_e32 v64, v65, v64
	v_mul_f32_e32 v65, 0xbf7d64f0, v56
	v_add_f32_e32 v66, v77, v67
	v_mul_f32_e32 v77, 0x3f0a6770, v115
	v_fma_f32 v80, 0xbe11bafb, v55, -v70
	v_mul_f32_e32 v81, 0x3e903f40, v82
	v_fmamk_f32 v116, v69, 0xbe11bafb, v65
	v_mul_f32_e32 v117, 0x3e903f40, v83
	v_fmamk_f32 v67, v84, 0x3f575c64, v77
	v_fma_f32 v71, 0x3f575c64, v99, -v109
	v_add_f32_e32 v80, v40, v80
	v_fma_f32 v118, 0xbf75a155, v73, -v81
	v_add_f32_e32 v116, v41, v116
	v_fmamk_f32 v131, v72, 0xbf75a155, v117
	v_mul_f32_e32 v168, 0x3f68dda4, v100
	v_add_f32_e32 v66, v67, v66
	v_add_f32_e32 v67, v71, v64
	v_mul_f32_e32 v64, 0x3f68dda4, v101
	v_add_f32_e32 v71, v118, v80
	v_add_f32_e32 v80, v131, v116
	v_fma_f32 v116, 0x3ed4b147, v76, -v168
	v_mul_f32_e32 v118, 0xbf0a6770, v102
	v_fmac_f32_e32 v70, 0xbe11bafb, v55
	v_fmamk_f32 v131, v79, 0x3ed4b147, v64
	v_mul_f32_e32 v169, 0xbf0a6770, v114
	v_add_f32_e32 v71, v116, v71
	v_fma_f32 v116, 0x3f575c64, v96, -v118
	v_add_f32_e32 v70, v40, v70
	v_fmac_f32_e32 v81, 0xbf75a155, v73
	v_fma_f32 v65, 0xbe11bafb, v69, -v65
	v_add_f32_e32 v80, v131, v80
	v_fmamk_f32 v131, v85, 0x3f575c64, v169
	v_add_f32_e32 v71, v116, v71
	v_mul_f32_e32 v116, 0xbf4178ce, v115
	v_add_f32_e32 v70, v81, v70
	v_fmac_f32_e32 v168, 0x3ed4b147, v76
	v_add_f32_e32 v65, v41, v65
	v_fma_f32 v81, 0xbf75a155, v72, -v117
	v_mul_f32_e32 v117, 0xbf4178ce, v103
	v_add_f32_e32 v80, v131, v80
	v_fma_f32 v131, 0xbf27a4f4, v84, -v116
	v_add_f32_e32 v168, v168, v70
	v_fmac_f32_e32 v118, 0x3f575c64, v96
	v_add_f32_e32 v65, v81, v65
	v_fma_f32 v64, 0x3ed4b147, v79, -v64
	v_fmamk_f32 v81, v99, 0xbf27a4f4, v117
	v_add_f32_e32 v70, v131, v71
	v_add_f32_e32 v118, v118, v168
	v_fmac_f32_e32 v116, 0xbf27a4f4, v84
	v_add_f32_e32 v65, v64, v65
	v_fma_f32 v131, 0x3f575c64, v85, -v169
	v_mul_f32_e32 v168, 0xbf4178ce, v57
	v_add_f32_e32 v71, v81, v80
	v_mul_f32_e32 v80, 0xbf4178ce, v56
	v_add_f32_e32 v64, v116, v118
	v_add_f32_e32 v65, v131, v65
	v_fma_f32 v81, 0xbf27a4f4, v55, -v168
	v_mul_f32_e32 v116, 0x3f7d64f0, v82
	v_fmamk_f32 v118, v69, 0xbf27a4f4, v80
	v_mul_f32_e32 v131, 0x3f7d64f0, v83
	v_mul_f32_e32 v170, 0xbf0a6770, v100
	v_add_f32_e32 v81, v40, v81
	v_fma_f32 v169, 0xbe11bafb, v73, -v116
	v_add_f32_e32 v118, v41, v118
	v_fmamk_f32 v171, v72, 0xbe11bafb, v131
	v_mul_f32_e32 v172, 0xbf0a6770, v101
	v_fma_f32 v117, 0xbf27a4f4, v99, -v117
	v_add_f32_e32 v81, v169, v81
	v_fma_f32 v169, 0x3f575c64, v76, -v170
	v_mul_f32_e32 v173, 0xbe903f40, v102
	v_add_f32_e32 v118, v171, v118
	v_fmamk_f32 v171, v79, 0x3f575c64, v172
	v_mul_f32_e32 v174, 0xbe903f40, v114
	v_add_f32_e32 v81, v169, v81
	v_fma_f32 v169, 0xbf75a155, v96, -v173
	v_add_f32_e32 v65, v117, v65
	v_add_f32_e32 v117, v171, v118
	v_fmamk_f32 v118, v85, 0xbf75a155, v174
	v_mul_f32_e32 v171, 0x3f68dda4, v115
	v_add_f32_e32 v81, v169, v81
	v_mul_f32_e32 v169, 0x3f68dda4, v103
	v_fma_f32 v175, 0xbf27a4f4, v69, -v80
	v_add_f32_e32 v117, v118, v117
	v_fma_f32 v118, 0x3ed4b147, v84, -v171
	v_fmac_f32_e32 v168, 0xbf27a4f4, v55
	v_fmamk_f32 v176, v99, 0x3ed4b147, v169
	v_fma_f32 v131, 0xbe11bafb, v72, -v131
	v_mul_f32_e32 v57, 0xbe903f40, v57
	v_add_f32_e32 v80, v118, v81
	v_add_f32_e32 v118, v41, v175
	;; [unrolled: 1-line block ×3, first 2 shown]
	v_fmac_f32_e32 v116, 0xbe11bafb, v73
	v_add_f32_e32 v81, v176, v117
	v_mul_f32_e32 v82, 0x3f0a6770, v82
	v_add_f32_e32 v117, v131, v118
	v_fma_f32 v118, 0xbf75a155, v55, -v57
	v_add_f32_e32 v116, v116, v168
	v_fmac_f32_e32 v170, 0x3f575c64, v76
	v_fma_f32 v131, 0x3f575c64, v79, -v172
	v_fma_f32 v168, 0x3f575c64, v73, -v82
	v_add_f32_e32 v118, v40, v118
	v_mul_f32_e32 v100, 0xbf4178ce, v100
	v_add_f32_e32 v116, v170, v116
	v_fmac_f32_e32 v173, 0xbf75a155, v96
	v_add_f32_e32 v117, v131, v117
	v_fma_f32 v131, 0xbf75a155, v85, -v174
	v_add_f32_e32 v118, v168, v118
	v_fma_f32 v168, 0xbf27a4f4, v76, -v100
	v_mul_f32_e32 v170, 0x3f68dda4, v102
	v_mul_f32_e32 v56, 0xbe903f40, v56
	v_add_f32_e32 v116, v173, v116
	v_add_f32_e32 v117, v131, v117
	v_fmac_f32_e32 v171, 0x3ed4b147, v84
	v_add_f32_e32 v118, v168, v118
	v_fma_f32 v131, 0x3ed4b147, v96, -v170
	v_fma_f32 v168, 0x3ed4b147, v99, -v169
	v_fmamk_f32 v169, v69, 0xbf75a155, v56
	v_mul_f32_e32 v83, 0x3f0a6770, v83
	v_fmac_f32_e32 v57, 0xbf75a155, v55
	v_fma_f32 v56, 0xbf75a155, v69, -v56
	v_add_f32_e32 v102, v171, v116
	v_add_f32_e32 v116, v131, v118
	;; [unrolled: 1-line block ×3, first 2 shown]
	v_fmamk_f32 v131, v72, 0x3f575c64, v83
	v_mul_f32_e32 v101, 0xbf4178ce, v101
	v_add_f32_e32 v57, v40, v57
	v_fmac_f32_e32 v82, 0x3f575c64, v73
	v_add_f32_e32 v56, v41, v56
	v_fma_f32 v83, 0x3f575c64, v72, -v83
	v_add_f32_e32 v118, v131, v118
	v_fmamk_f32 v131, v79, 0xbf27a4f4, v101
	v_mul_f32_e32 v114, 0x3f68dda4, v114
	v_add_f32_e32 v57, v82, v57
	v_fmac_f32_e32 v100, 0xbf27a4f4, v76
	v_add_f32_e32 v56, v83, v56
	v_fma_f32 v82, 0xbf27a4f4, v79, -v101
	v_mul_f32_e32 v115, 0xbf7d64f0, v115
	v_add_f32_e32 v118, v131, v118
	v_fmamk_f32 v83, v85, 0x3ed4b147, v114
	v_mul_f32_e32 v101, 0xbf7d64f0, v103
	v_add_f32_e32 v57, v100, v57
	v_fmac_f32_e32 v170, 0x3ed4b147, v96
	v_add_f32_e32 v56, v82, v56
	v_fma_f32 v82, 0x3ed4b147, v85, -v114
	v_fma_f32 v169, 0xbe11bafb, v84, -v115
	v_add_f32_e32 v83, v83, v118
	v_fmamk_f32 v100, v99, 0xbe11bafb, v101
	v_add_f32_e32 v57, v170, v57
	v_fmac_f32_e32 v115, 0xbe11bafb, v84
	v_add_f32_e32 v56, v82, v56
	v_fma_f32 v101, 0xbe11bafb, v99, -v101
	v_add_f32_e32 v103, v168, v117
	v_add_f32_e32 v82, v169, v116
	;; [unrolled: 1-line block ×5, first 2 shown]
	v_add_nc_u32_e32 v118, 0x9a0, v87
	v_add_nc_u32_e32 v117, 0xe70, v87
	;; [unrolled: 1-line block ×5, first 2 shown]
	v_lshrrev_b32_e32 v168, 1, v86
	ds_write2_b64 v167, v[121:122], v[125:126] offset0:8 offset1:10
	ds_write2_b64 v167, v[129:130], v[123:124] offset0:12 offset1:14
	ds_write2_b64 v167, v[119:120], v[110:111] offset0:16 offset1:18
	ds_write_b64 v167, v[127:128] offset:160
	s_and_saveexec_b32 s0, vcc_lo
	s_cbranch_execz .LBB0_5
; %bb.4:
	v_mul_f32_e32 v56, 0x3f575c64, v55
	v_mul_f32_e32 v55, 0x3ed4b147, v55
	;; [unrolled: 1-line block ×6, first 2 shown]
	v_sub_f32_e32 v55, v55, v97
	v_mul_f32_e32 v110, 0x3ed4b147, v72
	v_add_f32_e32 v69, v105, v69
	v_mul_f32_e32 v105, 0xbe11bafb, v76
	v_mul_f32_e32 v76, 0xbf75a155, v76
	v_add_f32_e32 v55, v40, v55
	v_sub_f32_e32 v73, v73, v98
	v_add_f32_e32 v43, v43, v57
	v_add_f32_e32 v69, v41, v69
	v_mul_f32_e32 v72, 0xbf27a4f4, v72
	v_sub_f32_e32 v45, v56, v45
	v_add_f32_e32 v55, v73, v55
	v_sub_f32_e32 v73, v76, v104
	v_add_f32_e32 v76, v41, v94
	v_add_f32_e32 v94, v40, v54
	;; [unrolled: 1-line block ×4, first 2 shown]
	v_mul_f32_e32 v111, 0xbe11bafb, v79
	v_add_f32_e32 v57, v76, v93
	v_add_f32_e32 v53, v94, v53
	;; [unrolled: 1-line block ×4, first 2 shown]
	v_mul_f32_e32 v79, 0xbf75a155, v79
	v_add_f32_e32 v57, v57, v92
	v_add_f32_e32 v52, v53, v52
	;; [unrolled: 1-line block ×3, first 2 shown]
	v_sub_f32_e32 v42, v87, v42
	v_add_f32_e32 v69, v72, v69
	v_add_f32_e32 v43, v57, v91
	;; [unrolled: 1-line block ×4, first 2 shown]
	v_mul_f32_e32 v79, 0xbe11bafb, v85
	v_add_f32_e32 v40, v42, v40
	v_add_f32_e32 v43, v43, v90
	;; [unrolled: 1-line block ×3, first 2 shown]
	v_mul_f32_e32 v97, 0x3f575c64, v99
	v_add_f32_e32 v69, v72, v69
	v_add_f32_e32 v72, v107, v79
	;; [unrolled: 1-line block ×4, first 2 shown]
	v_mul_f32_e32 v106, 0xbf27a4f4, v96
	v_mul_f32_e32 v119, 0xbf27a4f4, v85
	v_add_f32_e32 v52, v61, v111
	v_sub_f32_e32 v45, v105, v58
	v_add_f32_e32 v42, v42, v88
	v_add_f32_e32 v43, v43, v48
	v_mul_f32_e32 v96, 0xbe11bafb, v96
	v_add_f32_e32 v69, v72, v69
	v_add_f32_e32 v72, v109, v97
	v_mul_f32_e32 v85, 0xbf75a155, v84
	v_mul_f32_e32 v79, 0xbf75a155, v99
	v_add_f32_e32 v41, v52, v41
	v_add_f32_e32 v50, v63, v119
	;; [unrolled: 1-line block ×3, first 2 shown]
	v_sub_f32_e32 v45, v106, v60
	v_add_f32_e32 v42, v42, v75
	v_add_f32_e32 v43, v43, v47
	v_mul_u32_u24_e32 v47, 22, v168
	v_mul_f32_e32 v84, 0x3f575c64, v84
	v_add_f32_e32 v54, v72, v69
	v_add_f32_e32 v55, v73, v55
	v_sub_f32_e32 v69, v96, v78
	v_add_f32_e32 v41, v50, v41
	v_add_f32_e32 v48, v68, v79
	;; [unrolled: 1-line block ×3, first 2 shown]
	v_sub_f32_e32 v45, v85, v62
	v_add_f32_e32 v42, v42, v74
	v_add_f32_e32 v46, v43, v46
	v_or_b32_e32 v47, v47, v166
	v_add_f32_e32 v53, v69, v55
	v_sub_f32_e32 v49, v84, v77
	v_add_f32_e32 v41, v48, v41
	v_add_f32_e32 v40, v45, v40
	;; [unrolled: 1-line block ×4, first 2 shown]
	v_lshl_add_u32 v44, v47, 3, v165
	v_add_f32_e32 v53, v49, v53
	ds_write2_b64 v44, v[42:43], v[40:41] offset1:2
	ds_write2_b64 v44, v[53:54], v[70:71] offset0:4 offset1:6
	ds_write2_b64 v44, v[80:81], v[82:83] offset0:8 offset1:10
	;; [unrolled: 1-line block ×4, first 2 shown]
	ds_write_b64 v44, v[161:162] offset:160
.LBB0_5:
	s_or_b32 exec_lo, exec_lo, s0
	v_lshrrev_b16 v40, 1, v163
	v_lshrrev_b16 v41, 1, v86
	s_waitcnt lgkmcnt(0)
	s_barrier
	buffer_gl0_inv
	v_and_b32_e32 v40, 0x7f, v40
	v_add_nc_u32_e32 v174, 0x800, v164
	v_mov_b32_e32 v92, 0x9a
	v_add_nc_u32_e32 v175, 0x1800, v164
	v_add_nc_u32_e32 v173, 0xc00, v164
	v_mul_lo_u16 v40, 0xbb, v40
	v_add_nc_u32_e32 v172, 0x1000, v164
	v_lshrrev_b16 v68, 11, v40
	v_and_b32_e32 v40, 0x7f, v41
	v_mul_lo_u16 v41, v68, 22
	v_mul_lo_u16 v40, 0xbb, v40
	v_mul_u32_u24_sdwa v68, v68, v92 dst_sel:DWORD dst_unused:UNUSED_PAD src0_sel:WORD_0 src1_sel:DWORD
	v_sub_nc_u16 v41, v163, v41
	v_lshrrev_b16 v69, 11, v40
	v_and_b32_e32 v104, 0xff, v41
	v_mul_lo_u16 v42, v69, 22
	v_mul_u32_u24_sdwa v69, v69, v92 dst_sel:DWORD dst_unused:UNUSED_PAD src0_sel:WORD_0 src1_sel:DWORD
	v_mad_u64_u32 v[40:41], null, v104, 48, s[14:15]
	v_sub_nc_u16 v42, v86, v42
	v_add_nc_u32_e32 v108, v68, v104
	v_and_b32_e32 v105, 0xff, v42
	global_load_dwordx4 v[60:63], v[40:41], off offset:160
	v_lshl_add_u32 v170, v108, 3, v165
	v_mad_u64_u32 v[42:43], null, v105, 48, s[14:15]
	v_add_nc_u32_e32 v109, v69, v105
	v_mad_u64_u32 v[68:69], null, v163, 48, s[14:15]
	s_clause 0x4
	global_load_dwordx4 v[56:59], v[40:41], off offset:176
	global_load_dwordx4 v[52:55], v[40:41], off offset:192
	;; [unrolled: 1-line block ×5, first 2 shown]
	ds_read2_b64 v[72:75], v164 offset0:154 offset1:231
	ds_read2_b64 v[76:79], v174 offset0:52 offset1:129
	ds_read2_b64 v[84:87], v173 offset0:78 offset1:155
	ds_read2_b64 v[88:91], v172 offset0:104 offset1:181
	ds_read2_b64 v[92:95], v175 offset0:2 offset1:79
	ds_read2_b64 v[96:99], v175 offset0:156 offset1:233
	v_lshl_add_u32 v169, v109, 3, v165
	ds_read2_b64 v[104:107], v164 offset1:77
	s_waitcnt vmcnt(0) lgkmcnt(0)
	s_barrier
	buffer_gl0_inv
	v_mul_f32_e32 v108, v73, v61
	v_mul_f32_e32 v109, v72, v61
	;; [unrolled: 1-line block ×4, first 2 shown]
	v_fma_f32 v72, v72, v60, -v108
	v_mul_f32_e32 v119, v85, v57
	v_mul_f32_e32 v120, v84, v57
	;; [unrolled: 1-line block ×20, first 2 shown]
	v_fmac_f32_e32 v109, v73, v60
	v_fma_f32 v73, v76, v62, -v110
	v_fmac_f32_e32 v111, v77, v62
	v_fma_f32 v76, v84, v56, -v119
	;; [unrolled: 2-line block ×11, first 2 shown]
	v_fmac_f32_e32 v177, v91, v46
	v_add_f32_e32 v88, v72, v85
	v_add_f32_e32 v89, v109, v126
	v_add_f32_e32 v90, v73, v84
	v_add_f32_e32 v91, v111, v124
	v_sub_f32_e32 v72, v72, v85
	v_sub_f32_e32 v85, v109, v126
	v_sub_f32_e32 v73, v73, v84
	v_sub_f32_e32 v84, v111, v124
	v_add_f32_e32 v92, v76, v77
	v_add_f32_e32 v93, v120, v122
	v_sub_f32_e32 v76, v77, v76
	v_sub_f32_e32 v77, v122, v120
	v_add_f32_e32 v94, v74, v87
	v_add_f32_e32 v95, v128, v181
	v_add_f32_e32 v96, v75, v86
	v_add_f32_e32 v97, v130, v179
	v_sub_f32_e32 v74, v74, v87
	v_sub_f32_e32 v87, v128, v181
	;; [unrolled: 1-line block ×4, first 2 shown]
	v_add_f32_e32 v98, v78, v79
	v_add_f32_e32 v99, v171, v177
	v_sub_f32_e32 v78, v79, v78
	v_sub_f32_e32 v79, v177, v171
	v_add_f32_e32 v108, v90, v88
	v_add_f32_e32 v109, v91, v89
	v_sub_f32_e32 v110, v90, v88
	v_sub_f32_e32 v111, v91, v89
	;; [unrolled: 1-line block ×6, first 2 shown]
	v_add_f32_e32 v119, v76, v73
	v_add_f32_e32 v120, v77, v84
	v_sub_f32_e32 v121, v76, v73
	v_sub_f32_e32 v122, v77, v84
	;; [unrolled: 1-line block ×4, first 2 shown]
	v_add_f32_e32 v73, v96, v94
	v_add_f32_e32 v124, v97, v95
	v_sub_f32_e32 v125, v96, v94
	v_sub_f32_e32 v126, v97, v95
	;; [unrolled: 1-line block ×6, first 2 shown]
	v_add_f32_e32 v127, v78, v75
	v_add_f32_e32 v128, v79, v86
	v_sub_f32_e32 v129, v78, v75
	v_sub_f32_e32 v130, v79, v86
	;; [unrolled: 1-line block ×4, first 2 shown]
	v_add_f32_e32 v92, v92, v108
	v_add_f32_e32 v93, v93, v109
	v_sub_f32_e32 v76, v72, v76
	v_sub_f32_e32 v77, v85, v77
	v_add_f32_e32 v108, v119, v72
	v_add_f32_e32 v85, v120, v85
	v_mul_f32_e32 v75, 0x3f4a47b2, v88
	v_mul_f32_e32 v88, 0x3f4a47b2, v89
	;; [unrolled: 1-line block ×8, first 2 shown]
	v_add_f32_e32 v98, v98, v73
	v_add_f32_e32 v99, v99, v124
	v_sub_f32_e32 v78, v74, v78
	v_sub_f32_e32 v79, v87, v79
	v_add_f32_e32 v124, v127, v74
	v_add_f32_e32 v87, v128, v87
	v_mul_f32_e32 v94, 0x3f4a47b2, v94
	v_mul_f32_e32 v95, 0x3f4a47b2, v95
	;; [unrolled: 1-line block ×8, first 2 shown]
	v_add_f32_e32 v72, v104, v92
	v_add_f32_e32 v73, v105, v93
	v_fmamk_f32 v90, v90, 0x3d64c772, v75
	v_fmamk_f32 v91, v91, 0x3d64c772, v88
	v_fma_f32 v89, 0x3f3bfb3b, v110, -v89
	v_fma_f32 v104, 0x3f3bfb3b, v111, -v109
	;; [unrolled: 1-line block ×4, first 2 shown]
	v_fmamk_f32 v109, v76, 0x3eae86e6, v119
	v_fmamk_f32 v110, v77, 0x3eae86e6, v120
	v_fma_f32 v111, 0x3f5ff5aa, v123, -v119
	v_fma_f32 v119, 0x3f5ff5aa, v84, -v120
	;; [unrolled: 1-line block ×4, first 2 shown]
	v_add_f32_e32 v74, v106, v98
	v_add_f32_e32 v75, v107, v99
	v_fmamk_f32 v76, v96, 0x3d64c772, v94
	v_fmamk_f32 v77, v97, 0x3d64c772, v95
	v_fma_f32 v84, 0x3f3bfb3b, v125, -v127
	v_fma_f32 v96, 0x3f3bfb3b, v126, -v128
	;; [unrolled: 1-line block ×4, first 2 shown]
	v_fmamk_f32 v107, v78, 0x3eae86e6, v129
	v_fmamk_f32 v106, v79, 0x3eae86e6, v130
	v_fma_f32 v125, 0xbeae86e6, v78, -v171
	v_fma_f32 v126, 0xbeae86e6, v79, -v176
	v_fmamk_f32 v78, v92, 0xbf955555, v72
	v_fmamk_f32 v79, v93, 0xbf955555, v73
	v_fma_f32 v123, 0x3f5ff5aa, v86, -v130
	v_fma_f32 v122, 0x3f5ff5aa, v131, -v129
	v_fmac_f32_e32 v110, 0x3ee1c552, v85
	v_fmac_f32_e32 v119, 0x3ee1c552, v85
	;; [unrolled: 1-line block ×3, first 2 shown]
	v_fmamk_f32 v85, v98, 0xbf955555, v74
	v_fmamk_f32 v86, v99, 0xbf955555, v75
	v_fmac_f32_e32 v109, 0x3ee1c552, v108
	v_add_f32_e32 v90, v90, v78
	v_add_f32_e32 v91, v91, v79
	v_fmac_f32_e32 v111, 0x3ee1c552, v108
	v_fmac_f32_e32 v120, 0x3ee1c552, v108
	;; [unrolled: 1-line block ×5, first 2 shown]
	v_add_f32_e32 v87, v89, v78
	v_add_f32_e32 v89, v104, v79
	;; [unrolled: 1-line block ×4, first 2 shown]
	v_fmac_f32_e32 v107, 0x3ee1c552, v124
	v_fmac_f32_e32 v122, 0x3ee1c552, v124
	;; [unrolled: 1-line block ×3, first 2 shown]
	v_add_f32_e32 v108, v76, v85
	v_add_f32_e32 v124, v77, v86
	v_add_f32_e32 v98, v84, v85
	v_add_f32_e32 v99, v96, v86
	v_add_f32_e32 v104, v94, v85
	v_add_f32_e32 v105, v95, v86
	v_add_f32_e32 v76, v110, v90
	v_sub_f32_e32 v77, v91, v109
	v_add_f32_e32 v78, v121, v92
	v_sub_f32_e32 v79, v93, v120
	v_sub_f32_e32 v84, v87, v119
	v_add_f32_e32 v85, v111, v89
	v_add_f32_e32 v86, v119, v87
	v_sub_f32_e32 v87, v89, v111
	v_sub_f32_e32 v88, v92, v121
	v_add_f32_e32 v89, v120, v93
	v_sub_f32_e32 v90, v90, v110
	v_add_f32_e32 v91, v109, v91
	v_add_f32_e32 v92, v106, v108
	v_sub_f32_e32 v93, v124, v107
	v_add_f32_e32 v94, v126, v104
	v_sub_f32_e32 v95, v105, v125
	v_sub_f32_e32 v96, v98, v123
	v_add_f32_e32 v97, v122, v99
	v_add_f32_e32 v98, v123, v98
	v_sub_f32_e32 v99, v99, v122
	v_sub_f32_e32 v104, v104, v126
	v_add_f32_e32 v105, v125, v105
	v_sub_f32_e32 v106, v108, v106
	v_add_f32_e32 v107, v107, v124
	ds_write2_b64 v170, v[72:73], v[76:77] offset1:22
	ds_write2_b64 v170, v[78:79], v[84:85] offset0:44 offset1:66
	ds_write2_b64 v170, v[86:87], v[88:89] offset0:88 offset1:110
	ds_write_b64 v170, v[90:91] offset:1056
	ds_write2_b64 v169, v[74:75], v[92:93] offset1:22
	ds_write2_b64 v169, v[94:95], v[96:97] offset0:44 offset1:66
	ds_write2_b64 v169, v[98:99], v[104:105] offset0:88 offset1:110
	ds_write_b64 v169, v[106:107] offset:1056
	v_add_co_u32 v72, s0, 0x1000, v68
	v_add_co_ci_u32_e64 v73, s0, 0, v69, s0
	s_waitcnt lgkmcnt(0)
	s_barrier
	buffer_gl0_inv
	s_clause 0x2
	global_load_dwordx4 v[88:91], v[68:69], off offset:1216
	global_load_dwordx4 v[96:99], v[68:69], off offset:1232
	;; [unrolled: 1-line block ×3, first 2 shown]
	v_add_co_u32 v68, s0, 0x1330, v68
	v_add_co_ci_u32_e64 v69, s0, 0, v69, s0
	s_clause 0x2
	global_load_dwordx4 v[84:87], v[72:73], off offset:816
	global_load_dwordx4 v[76:79], v[68:69], off offset:16
	;; [unrolled: 1-line block ×3, first 2 shown]
	ds_read2_b64 v[120:123], v164 offset0:154 offset1:231
	ds_read2_b64 v[124:127], v174 offset0:52 offset1:129
	;; [unrolled: 1-line block ×6, first 2 shown]
	ds_read2_b64 v[188:191], v164 offset1:77
	v_lshlrev_b32_e32 v68, 3, v163
	v_lshl_add_u32 v171, v163, 3, v165
	v_add_nc_u32_e32 v119, 0x400, v164
	v_add_nc_u32_e32 v110, 0x600, v164
	v_add_co_u32 v108, s0, s12, v68
	v_add_co_ci_u32_e64 v109, null, s13, 0, s0
	v_add_nc_u32_e32 v111, 0x1200, v171
	v_add_co_u32 v104, s0, 0x21b0, v108
	v_add_co_u32 v106, s1, 0x2000, v108
	v_add_co_ci_u32_e64 v105, s0, 0, v109, s0
	v_add_co_ci_u32_e64 v107, s0, 0, v109, s1
	v_add_co_u32 v68, s2, 0x3000, v108
	v_add_co_u32 v192, s3, 0x3800, v108
	v_add_co_ci_u32_e64 v69, s0, 0, v109, s2
	s_waitcnt vmcnt(5) lgkmcnt(6)
	v_mul_f32_e32 v193, v121, v89
	v_mul_f32_e32 v194, v120, v89
	s_waitcnt lgkmcnt(5)
	v_mul_f32_e32 v195, v125, v91
	v_mul_f32_e32 v196, v124, v91
	s_waitcnt vmcnt(4) lgkmcnt(4)
	v_mul_f32_e32 v197, v129, v97
	v_mul_f32_e32 v198, v128, v97
	s_waitcnt vmcnt(3) lgkmcnt(2)
	v_mul_f32_e32 v201, v181, v93
	v_mul_f32_e32 v202, v180, v93
	s_waitcnt lgkmcnt(1)
	v_mul_f32_e32 v203, v185, v95
	v_mul_f32_e32 v204, v184, v95
	;; [unrolled: 1-line block ×4, first 2 shown]
	s_waitcnt vmcnt(2)
	v_mul_f32_e32 v205, v123, v85
	v_mul_f32_e32 v206, v122, v85
	;; [unrolled: 1-line block ×4, first 2 shown]
	s_waitcnt vmcnt(1)
	v_mul_f32_e32 v209, v131, v77
	v_mul_f32_e32 v210, v130, v77
	s_waitcnt vmcnt(0)
	v_mul_f32_e32 v213, v183, v73
	v_mul_f32_e32 v214, v182, v73
	;; [unrolled: 1-line block ×6, first 2 shown]
	v_fma_f32 v120, v120, v88, -v193
	v_fmac_f32_e32 v194, v121, v88
	v_fma_f32 v121, v124, v90, -v195
	v_fmac_f32_e32 v196, v125, v90
	;; [unrolled: 2-line block ×12, first 2 shown]
	v_add_f32_e32 v176, v120, v129
	v_add_f32_e32 v177, v194, v204
	;; [unrolled: 1-line block ×4, first 2 shown]
	v_sub_f32_e32 v120, v120, v129
	v_sub_f32_e32 v129, v194, v204
	;; [unrolled: 1-line block ×4, first 2 shown]
	v_add_f32_e32 v180, v124, v125
	v_add_f32_e32 v181, v198, v200
	v_sub_f32_e32 v124, v125, v124
	v_sub_f32_e32 v125, v200, v198
	v_add_f32_e32 v182, v122, v131
	v_add_f32_e32 v183, v206, v216
	;; [unrolled: 1-line block ×4, first 2 shown]
	v_sub_f32_e32 v122, v122, v131
	v_sub_f32_e32 v131, v206, v216
	v_sub_f32_e32 v123, v123, v130
	v_sub_f32_e32 v130, v208, v214
	v_add_f32_e32 v186, v126, v127
	v_add_f32_e32 v187, v210, v212
	v_sub_f32_e32 v126, v127, v126
	v_sub_f32_e32 v127, v212, v210
	v_add_f32_e32 v193, v178, v176
	v_add_f32_e32 v194, v179, v177
	v_sub_f32_e32 v195, v178, v176
	v_sub_f32_e32 v196, v179, v177
	;; [unrolled: 1-line block ×6, first 2 shown]
	v_add_f32_e32 v197, v124, v121
	v_add_f32_e32 v198, v125, v128
	v_sub_f32_e32 v199, v124, v121
	v_sub_f32_e32 v200, v125, v128
	v_sub_f32_e32 v201, v121, v120
	v_sub_f32_e32 v128, v128, v129
	v_add_f32_e32 v121, v184, v182
	v_add_f32_e32 v202, v185, v183
	v_sub_f32_e32 v203, v184, v182
	v_sub_f32_e32 v204, v185, v183
	;; [unrolled: 1-line block ×6, first 2 shown]
	v_add_f32_e32 v205, v126, v123
	v_add_f32_e32 v206, v127, v130
	v_sub_f32_e32 v207, v126, v123
	v_sub_f32_e32 v208, v127, v130
	;; [unrolled: 1-line block ×4, first 2 shown]
	v_add_f32_e32 v180, v180, v193
	v_add_f32_e32 v181, v181, v194
	v_sub_f32_e32 v124, v120, v124
	v_sub_f32_e32 v125, v129, v125
	v_add_f32_e32 v193, v197, v120
	v_add_f32_e32 v129, v198, v129
	v_mul_f32_e32 v123, 0x3f4a47b2, v176
	v_mul_f32_e32 v176, 0x3f4a47b2, v177
	;; [unrolled: 1-line block ×8, first 2 shown]
	v_add_f32_e32 v186, v186, v121
	v_add_f32_e32 v187, v187, v202
	v_sub_f32_e32 v126, v122, v126
	v_sub_f32_e32 v127, v131, v127
	v_add_f32_e32 v202, v205, v122
	v_add_f32_e32 v131, v206, v131
	v_mul_f32_e32 v182, 0x3f4a47b2, v182
	v_mul_f32_e32 v183, 0x3f4a47b2, v183
	;; [unrolled: 1-line block ×8, first 2 shown]
	s_waitcnt lgkmcnt(0)
	v_add_f32_e32 v120, v188, v180
	v_add_f32_e32 v121, v189, v181
	v_fmamk_f32 v178, v178, 0x3d64c772, v123
	v_fmamk_f32 v179, v179, 0x3d64c772, v176
	v_fma_f32 v177, 0x3f3bfb3b, v195, -v177
	v_fma_f32 v188, 0x3f3bfb3b, v196, -v194
	;; [unrolled: 1-line block ×4, first 2 shown]
	v_fmamk_f32 v194, v124, 0x3eae86e6, v197
	v_fmamk_f32 v195, v125, 0x3eae86e6, v198
	v_fma_f32 v196, 0x3f5ff5aa, v201, -v197
	v_fma_f32 v197, 0x3f5ff5aa, v128, -v198
	;; [unrolled: 1-line block ×4, first 2 shown]
	v_add_f32_e32 v122, v190, v186
	v_add_f32_e32 v123, v191, v187
	v_fmamk_f32 v124, v184, 0x3d64c772, v182
	v_fmamk_f32 v125, v185, 0x3d64c772, v183
	v_fma_f32 v128, 0x3f3bfb3b, v203, -v205
	v_fma_f32 v184, 0x3f3bfb3b, v204, -v206
	;; [unrolled: 1-line block ×4, first 2 shown]
	v_fmamk_f32 v191, v126, 0x3eae86e6, v207
	v_fmamk_f32 v190, v127, 0x3eae86e6, v208
	v_fma_f32 v203, 0xbeae86e6, v126, -v210
	v_fma_f32 v204, 0xbeae86e6, v127, -v211
	v_fmamk_f32 v126, v180, 0xbf955555, v120
	v_fmamk_f32 v127, v181, 0xbf955555, v121
	v_fma_f32 v201, 0x3f5ff5aa, v130, -v208
	v_fma_f32 v200, 0x3f5ff5aa, v209, -v207
	v_fmac_f32_e32 v195, 0x3ee1c552, v129
	v_fmac_f32_e32 v197, 0x3ee1c552, v129
	;; [unrolled: 1-line block ×3, first 2 shown]
	v_fmamk_f32 v129, v186, 0xbf955555, v122
	v_fmamk_f32 v130, v187, 0xbf955555, v123
	v_fmac_f32_e32 v194, 0x3ee1c552, v193
	v_fmac_f32_e32 v198, 0x3ee1c552, v193
	v_add_f32_e32 v178, v178, v126
	v_add_f32_e32 v179, v179, v127
	;; [unrolled: 1-line block ×4, first 2 shown]
	v_fmac_f32_e32 v196, 0x3ee1c552, v193
	v_fmac_f32_e32 v190, 0x3ee1c552, v131
	;; [unrolled: 1-line block ×4, first 2 shown]
	v_add_f32_e32 v131, v177, v126
	v_add_f32_e32 v177, v188, v127
	v_fmac_f32_e32 v200, 0x3ee1c552, v202
	v_add_f32_e32 v186, v128, v129
	v_add_f32_e32 v187, v184, v130
	v_fmac_f32_e32 v191, 0x3ee1c552, v202
	v_fmac_f32_e32 v203, 0x3ee1c552, v202
	v_add_f32_e32 v193, v124, v129
	v_add_f32_e32 v202, v125, v130
	;; [unrolled: 1-line block ×5, first 2 shown]
	v_sub_f32_e32 v125, v179, v194
	v_add_f32_e32 v126, v199, v180
	v_sub_f32_e32 v127, v181, v198
	v_sub_f32_e32 v128, v131, v197
	v_add_f32_e32 v129, v196, v177
	v_add_f32_e32 v130, v197, v131
	v_sub_f32_e32 v131, v177, v196
	v_sub_f32_e32 v176, v180, v199
	v_add_f32_e32 v177, v198, v181
	v_sub_f32_e32 v178, v178, v195
	v_add_f32_e32 v179, v194, v179
	;; [unrolled: 2-line block ×3, first 2 shown]
	v_add_f32_e32 v180, v190, v193
	v_sub_f32_e32 v181, v202, v191
	v_add_f32_e32 v182, v204, v188
	v_sub_f32_e32 v183, v189, v203
	;; [unrolled: 2-line block ×3, first 2 shown]
	v_sub_f32_e32 v188, v188, v204
	v_add_f32_e32 v189, v203, v189
	v_sub_f32_e32 v190, v193, v190
	v_add_f32_e32 v191, v191, v202
	ds_write2_b64 v119, v[124:125], v[126:127] offset0:26 offset1:180
	ds_write_b64 v164, v[128:129] offset:3696
	ds_write2_b64 v111, v[130:131], v[176:177] offset0:40 offset1:194
	ds_write_b64 v171, v[178:179] offset:7392
	ds_write2_b64 v164, v[120:121], v[122:123] offset1:77
	ds_write2_b64 v110, v[180:181], v[182:183] offset0:39 offset1:193
	ds_write2_b64 v172, v[184:185], v[186:187] offset0:27 offset1:181
	;; [unrolled: 1-line block ×3, first 2 shown]
	s_waitcnt lgkmcnt(0)
	s_barrier
	buffer_gl0_inv
	global_load_dwordx2 v[184:185], v[106:107], off offset:432
	v_add_co_u32 v106, s0, 0x2800, v108
	v_add_co_ci_u32_e64 v193, s1, 0, v109, s3
	v_add_co_ci_u32_e64 v107, s0, 0, v109, s0
	s_clause 0x7
	global_load_dwordx2 v[186:187], v[68:69], off offset:648
	global_load_dwordx2 v[188:189], v[104:105], off offset:616
	;; [unrolled: 1-line block ×8, first 2 shown]
	v_add_co_u32 v104, s0, 0x4000, v108
	v_add_co_ci_u32_e64 v105, s0, 0, v109, s0
	s_clause 0x4
	global_load_dwordx2 v[204:205], v[192:193], off offset:1064
	global_load_dwordx2 v[206:207], v[106:107], off offset:1464
	;; [unrolled: 1-line block ×5, first 2 shown]
	ds_read2_b64 v[104:107], v164 offset1:77
	ds_read2_b64 v[108:111], v173 offset0:78 offset1:155
	ds_read2_b64 v[120:123], v172 offset0:104 offset1:181
	;; [unrolled: 1-line block ×6, first 2 shown]
	s_waitcnt vmcnt(13) lgkmcnt(6)
	v_mul_f32_e32 v211, v105, v185
	v_mul_f32_e32 v210, v104, v185
	s_waitcnt vmcnt(12) lgkmcnt(5)
	v_mul_f32_e32 v212, v111, v187
	v_mul_f32_e32 v185, v110, v187
	s_waitcnt vmcnt(11)
	v_mul_f32_e32 v213, v107, v189
	v_mul_f32_e32 v187, v106, v189
	s_waitcnt vmcnt(10) lgkmcnt(4)
	v_mul_f32_e32 v214, v121, v191
	v_mul_f32_e32 v189, v120, v191
	s_waitcnt vmcnt(9) lgkmcnt(3)
	v_mul_f32_e32 v215, v125, v195
	v_mul_f32_e32 v191, v124, v195
	s_waitcnt vmcnt(8)
	v_mul_f32_e32 v216, v123, v197
	v_mul_f32_e32 v195, v122, v197
	s_waitcnt vmcnt(7)
	v_mul_f32_e32 v217, v127, v199
	v_mul_f32_e32 v197, v126, v199
	s_waitcnt vmcnt(6) lgkmcnt(2)
	v_mul_f32_e32 v218, v129, v201
	v_mul_f32_e32 v199, v128, v201
	s_waitcnt vmcnt(5) lgkmcnt(1)
	v_mul_f32_e32 v219, v177, v203
	v_mul_f32_e32 v201, v176, v203
	s_waitcnt vmcnt(4)
	v_mul_f32_e32 v220, v131, v205
	v_mul_f32_e32 v203, v130, v205
	s_waitcnt vmcnt(3)
	v_mul_f32_e32 v221, v179, v207
	v_mul_f32_e32 v205, v178, v207
	s_waitcnt vmcnt(2) lgkmcnt(0)
	v_mul_f32_e32 v222, v181, v193
	v_mul_f32_e32 v207, v180, v193
	s_waitcnt vmcnt(1)
	v_mul_f32_e32 v223, v109, v69
	v_mul_f32_e32 v193, v108, v69
	s_waitcnt vmcnt(0)
	v_mul_f32_e32 v224, v183, v209
	v_mul_f32_e32 v69, v182, v209
	v_fma_f32 v209, v104, v184, -v211
	v_fmac_f32_e32 v210, v105, v184
	v_fma_f32 v184, v110, v186, -v212
	v_fmac_f32_e32 v185, v111, v186
	;; [unrolled: 2-line block ×14, first 2 shown]
	ds_write2_b64 v164, v[209:210], v[186:187] offset1:77
	ds_write2_b64 v172, v[188:189], v[194:195] offset0:104 offset1:181
	ds_write2_b64 v164, v[190:191], v[196:197] offset0:154 offset1:231
	;; [unrolled: 1-line block ×6, first 2 shown]
	s_waitcnt lgkmcnt(0)
	s_barrier
	buffer_gl0_inv
	ds_read2_b64 v[120:123], v164 offset1:77
	ds_read2_b64 v[108:111], v173 offset0:78 offset1:155
	ds_read2_b64 v[104:107], v172 offset0:104 offset1:181
	;; [unrolled: 1-line block ×6, first 2 shown]
	s_waitcnt lgkmcnt(0)
	s_barrier
	buffer_gl0_inv
	v_sub_f32_e32 v184, v120, v110
	v_sub_f32_e32 v185, v121, v111
	;; [unrolled: 1-line block ×14, first 2 shown]
	v_fma_f32 v182, v120, 2.0, -v184
	v_fma_f32 v183, v121, 2.0, -v185
	;; [unrolled: 1-line block ×14, first 2 shown]
	ds_write_b128 v112, v[182:185]
	ds_write_b128 v113, v[186:189]
	;; [unrolled: 1-line block ×7, first 2 shown]
	s_waitcnt lgkmcnt(0)
	s_barrier
	buffer_gl0_inv
	ds_read2_b64 v[112:115], v164 offset1:98
	ds_read2_b64 v[128:131], v119 offset0:68 offset1:166
	ds_read2_b64 v[124:127], v174 offset0:136 offset1:234
	;; [unrolled: 1-line block ×4, first 2 shown]
	ds_read_b64 v[104:105], v164 offset:7840
	s_and_saveexec_b32 s0, vcc_lo
	s_cbranch_execz .LBB0_7
; %bb.6:
	ds_read2_b64 v[68:71], v174 offset0:17 offset1:115
	ds_read2_b64 v[106:109], v164 offset0:77 offset1:175
	ds_read2_b64 v[80:83], v173 offset0:85 offset1:183
	ds_read2_b64 v[100:103], v172 offset0:153 offset1:251
	ds_read2_b64 v[64:67], v175 offset0:93 offset1:191
	ds_read_b64 v[161:162], v164 offset:8456
	s_waitcnt lgkmcnt(5)
	v_mov_b32_e32 v110, v68
	v_mov_b32_e32 v111, v69
.LBB0_7:
	s_or_b32 exec_lo, exec_lo, s0
	s_waitcnt lgkmcnt(5)
	v_mul_f32_e32 v68, v37, v115
	v_mul_f32_e32 v69, v37, v114
	s_waitcnt lgkmcnt(4)
	v_mul_f32_e32 v172, v39, v129
	v_mul_f32_e32 v39, v39, v128
	v_add_nc_u32_e32 v37, 0x268, v164
	v_fmac_f32_e32 v68, v36, v114
	v_fma_f32 v36, v36, v115, -v69
	v_mul_f32_e32 v69, v33, v131
	v_mul_f32_e32 v33, v33, v130
	v_fmac_f32_e32 v172, v38, v128
	v_fma_f32 v38, v38, v129, -v39
	s_waitcnt lgkmcnt(3)
	v_mul_f32_e32 v39, v35, v125
	v_mul_f32_e32 v35, v35, v124
	v_fmac_f32_e32 v69, v32, v130
	v_fma_f32 v32, v32, v131, -v33
	v_mul_f32_e32 v33, v29, v127
	v_mul_f32_e32 v29, v29, v126
	v_add_f32_e32 v114, v112, v68
	v_fmac_f32_e32 v39, v34, v124
	v_fma_f32 v34, v34, v125, -v35
	s_waitcnt lgkmcnt(2)
	v_mul_f32_e32 v35, v31, v121
	v_fmac_f32_e32 v33, v28, v126
	v_fma_f32 v28, v28, v127, -v29
	v_mul_f32_e32 v29, v31, v120
	v_add_f32_e32 v31, v114, v172
	v_add_f32_e32 v115, v113, v36
	v_fmac_f32_e32 v35, v30, v120
	s_waitcnt lgkmcnt(0)
	v_fma_f32 v29, v30, v121, -v29
	v_add_f32_e32 v30, v31, v69
	v_add_f32_e32 v114, v115, v38
	v_mul_f32_e32 v115, v25, v123
	v_mul_f32_e32 v25, v25, v122
	s_barrier
	v_add_f32_e32 v30, v30, v39
	v_add_f32_e32 v31, v114, v32
	v_fmac_f32_e32 v115, v24, v122
	v_fma_f32 v24, v24, v123, -v25
	v_mul_f32_e32 v25, v27, v117
	v_add_f32_e32 v30, v30, v33
	v_add_f32_e32 v31, v31, v34
	v_mul_f32_e32 v27, v27, v116
	v_mul_f32_e32 v114, v21, v119
	v_fmac_f32_e32 v25, v26, v116
	v_add_f32_e32 v30, v30, v35
	v_add_f32_e32 v31, v31, v28
	v_fma_f32 v26, v26, v117, -v27
	v_mul_f32_e32 v27, v23, v104
	v_mul_f32_e32 v23, v23, v105
	;; [unrolled: 1-line block ×3, first 2 shown]
	v_add_f32_e32 v30, v30, v115
	v_fmac_f32_e32 v114, v20, v118
	v_add_f32_e32 v31, v31, v29
	v_fma_f32 v27, v22, v105, -v27
	v_fmac_f32_e32 v23, v22, v104
	v_fma_f32 v22, v20, v119, -v21
	v_add_f32_e32 v20, v30, v25
	v_add_f32_e32 v31, v31, v24
	v_sub_f32_e32 v104, v36, v27
	v_add_f32_e32 v30, v68, v23
	v_sub_f32_e32 v68, v68, v23
	v_add_f32_e32 v20, v20, v114
	v_add_f32_e32 v21, v31, v26
	v_add_f32_e32 v31, v36, v27
	v_mul_f32_e32 v36, 0xbf0a6770, v104
	v_mul_f32_e32 v119, 0xbf7d64f0, v104
	v_add_f32_e32 v20, v20, v23
	v_mul_f32_e32 v23, 0xbf68dda4, v104
	v_mul_f32_e32 v124, 0xbf4178ce, v104
	;; [unrolled: 1-line block ×3, first 2 shown]
	v_sub_f32_e32 v129, v38, v22
	v_add_f32_e32 v21, v21, v22
	v_mul_f32_e32 v105, 0x3f575c64, v31
	v_fmamk_f32 v116, v30, 0x3f575c64, v36
	v_fma_f32 v36, 0x3f575c64, v30, -v36
	v_fmamk_f32 v117, v30, 0x3ed4b147, v23
	v_mul_f32_e32 v118, 0x3ed4b147, v31
	v_fma_f32 v23, 0x3ed4b147, v30, -v23
	v_mul_f32_e32 v121, 0xbe11bafb, v31
	v_fmamk_f32 v122, v30, 0xbe11bafb, v119
	v_fma_f32 v119, 0xbe11bafb, v30, -v119
	v_mul_f32_e32 v125, 0xbf27a4f4, v31
	v_fmamk_f32 v126, v30, 0xbf27a4f4, v124
	v_fma_f32 v124, 0xbf27a4f4, v30, -v124
	v_fmamk_f32 v128, v30, 0xbf75a155, v104
	v_mul_f32_e32 v31, 0xbf75a155, v31
	v_fma_f32 v30, 0xbf75a155, v30, -v104
	v_add_f32_e32 v22, v38, v22
	v_add_f32_e32 v38, v172, v114
	v_mul_f32_e32 v104, 0xbf68dda4, v129
	v_add_f32_e32 v21, v21, v27
	v_fmamk_f32 v27, v68, 0x3f0a6770, v105
	v_add_f32_e32 v116, v112, v116
	v_fmac_f32_e32 v105, 0xbf0a6770, v68
	v_fmamk_f32 v120, v68, 0x3f68dda4, v118
	v_fmac_f32_e32 v118, 0xbf68dda4, v68
	v_fmamk_f32 v123, v68, 0x3f7d64f0, v121
	v_fmac_f32_e32 v121, 0xbf7d64f0, v68
	v_fmamk_f32 v127, v68, 0x3f4178ce, v125
	v_fmac_f32_e32 v125, 0xbf4178ce, v68
	v_fmamk_f32 v130, v68, 0x3e903f40, v31
	v_fmac_f32_e32 v31, 0xbe903f40, v68
	v_sub_f32_e32 v68, v172, v114
	v_mul_f32_e32 v114, 0x3ed4b147, v22
	v_fmamk_f32 v131, v38, 0x3ed4b147, v104
	v_add_f32_e32 v27, v113, v27
	v_add_f32_e32 v36, v112, v36
	v_add_f32_e32 v105, v113, v105
	v_add_f32_e32 v117, v112, v117
	v_add_f32_e32 v120, v113, v120
	v_add_f32_e32 v23, v112, v23
	v_add_f32_e32 v118, v113, v118
	v_add_f32_e32 v122, v112, v122
	v_add_f32_e32 v123, v113, v123
	v_add_f32_e32 v119, v112, v119
	v_add_f32_e32 v121, v113, v121
	v_add_f32_e32 v126, v112, v126
	v_add_f32_e32 v127, v113, v127
	v_add_f32_e32 v124, v112, v124
	v_add_f32_e32 v125, v113, v125
	v_add_f32_e32 v128, v112, v128
	v_add_f32_e32 v130, v113, v130
	v_add_f32_e32 v30, v112, v30
	v_add_f32_e32 v31, v113, v31
	v_fmamk_f32 v112, v68, 0x3f68dda4, v114
	v_mul_f32_e32 v113, 0xbf4178ce, v129
	v_add_f32_e32 v116, v131, v116
	v_fma_f32 v104, 0x3ed4b147, v38, -v104
	v_fmac_f32_e32 v114, 0xbf68dda4, v68
	v_mul_f32_e32 v131, 0xbf27a4f4, v22
	v_add_f32_e32 v27, v112, v27
	v_fmamk_f32 v112, v38, 0xbf27a4f4, v113
	v_add_f32_e32 v36, v104, v36
	v_add_f32_e32 v104, v114, v105
	v_mul_f32_e32 v105, 0x3e903f40, v129
	v_fmamk_f32 v114, v68, 0x3f4178ce, v131
	v_fma_f32 v113, 0xbf27a4f4, v38, -v113
	v_fmac_f32_e32 v131, 0xbf4178ce, v68
	v_mul_f32_e32 v172, 0xbf75a155, v22
	v_add_f32_e32 v112, v112, v117
	v_fmamk_f32 v117, v38, 0xbf75a155, v105
	v_add_f32_e32 v114, v114, v120
	v_add_f32_e32 v23, v113, v23
	;; [unrolled: 1-line block ×3, first 2 shown]
	v_fmamk_f32 v118, v68, 0xbe903f40, v172
	v_mul_f32_e32 v120, 0x3f7d64f0, v129
	v_add_f32_e32 v117, v117, v122
	v_fma_f32 v105, 0xbf75a155, v38, -v105
	v_mul_f32_e32 v122, 0xbe11bafb, v22
	v_add_f32_e32 v118, v118, v123
	v_fmamk_f32 v123, v38, 0xbe11bafb, v120
	v_mul_f32_e32 v129, 0x3f0a6770, v129
	v_fma_f32 v120, 0xbe11bafb, v38, -v120
	v_add_f32_e32 v105, v105, v119
	v_fmamk_f32 v119, v68, 0xbf7d64f0, v122
	v_add_f32_e32 v123, v123, v126
	v_fmac_f32_e32 v122, 0x3f7d64f0, v68
	v_fmamk_f32 v126, v38, 0x3f575c64, v129
	v_add_f32_e32 v120, v120, v124
	v_sub_f32_e32 v124, v32, v26
	v_add_f32_e32 v119, v119, v127
	v_mul_f32_e32 v22, 0x3f575c64, v22
	v_add_f32_e32 v122, v122, v125
	v_add_f32_e32 v125, v126, v128
	;; [unrolled: 1-line block ×3, first 2 shown]
	v_mul_f32_e32 v128, 0xbf7d64f0, v124
	v_add_f32_e32 v26, v32, v26
	v_fmac_f32_e32 v172, 0x3e903f40, v68
	v_fmamk_f32 v126, v68, 0xbf0a6770, v22
	v_fma_f32 v32, 0x3f575c64, v38, -v129
	v_fmac_f32_e32 v22, 0x3f0a6770, v68
	v_sub_f32_e32 v25, v69, v25
	v_fmamk_f32 v38, v127, 0xbe11bafb, v128
	v_mul_f32_e32 v68, 0xbe11bafb, v26
	v_add_f32_e32 v69, v126, v130
	v_add_f32_e32 v30, v32, v30
	;; [unrolled: 1-line block ×4, first 2 shown]
	v_fmamk_f32 v32, v25, 0x3f7d64f0, v68
	v_mul_f32_e32 v38, 0x3e903f40, v124
	v_fma_f32 v116, 0xbe11bafb, v127, -v128
	v_fmac_f32_e32 v68, 0xbf7d64f0, v25
	v_mul_f32_e32 v126, 0xbf75a155, v26
	v_add_f32_e32 v27, v32, v27
	v_fmamk_f32 v32, v127, 0xbf75a155, v38
	v_add_f32_e32 v36, v116, v36
	v_add_f32_e32 v68, v68, v104
	v_fmamk_f32 v104, v25, 0xbe903f40, v126
	v_mul_f32_e32 v116, 0x3f68dda4, v124
	v_add_f32_e32 v32, v32, v112
	v_fma_f32 v38, 0xbf75a155, v127, -v38
	v_fmac_f32_e32 v126, 0x3e903f40, v25
	v_add_f32_e32 v104, v104, v114
	v_fmamk_f32 v112, v127, 0x3ed4b147, v116
	v_mul_f32_e32 v114, 0x3ed4b147, v26
	v_add_f32_e32 v23, v38, v23
	v_add_f32_e32 v38, v126, v113
	v_mul_f32_e32 v113, 0xbf0a6770, v124
	v_add_f32_e32 v112, v112, v117
	v_fmamk_f32 v117, v25, 0xbf68dda4, v114
	v_mul_f32_e32 v128, 0x3f575c64, v26
	v_add_f32_e32 v121, v172, v121
	v_fma_f32 v116, 0x3ed4b147, v127, -v116
	v_fmac_f32_e32 v114, 0x3f68dda4, v25
	v_fmamk_f32 v126, v127, 0x3f575c64, v113
	v_add_f32_e32 v117, v117, v118
	v_fmamk_f32 v118, v25, 0x3f0a6770, v128
	v_mul_f32_e32 v26, 0xbf27a4f4, v26
	v_fma_f32 v113, 0x3f575c64, v127, -v113
	v_fmac_f32_e32 v128, 0xbf0a6770, v25
	v_add_f32_e32 v105, v116, v105
	v_add_f32_e32 v114, v114, v121
	;; [unrolled: 1-line block ×3, first 2 shown]
	v_mul_f32_e32 v121, 0xbf4178ce, v124
	v_fmamk_f32 v123, v25, 0x3f4178ce, v26
	v_add_f32_e32 v113, v113, v120
	v_add_f32_e32 v120, v128, v122
	v_sub_f32_e32 v122, v34, v24
	v_add_f32_e32 v24, v34, v24
	v_add_f32_e32 v118, v118, v119
	v_fmamk_f32 v119, v127, 0xbf27a4f4, v121
	v_add_f32_e32 v69, v123, v69
	v_add_f32_e32 v123, v39, v115
	v_mul_f32_e32 v34, 0xbf4178ce, v122
	v_fma_f32 v121, 0xbf27a4f4, v127, -v121
	v_fmac_f32_e32 v26, 0xbf4178ce, v25
	v_sub_f32_e32 v25, v39, v115
	v_mul_f32_e32 v39, 0xbf27a4f4, v24
	v_fmamk_f32 v115, v123, 0xbf27a4f4, v34
	v_add_f32_e32 v30, v121, v30
	v_add_f32_e32 v22, v26, v22
	v_mul_f32_e32 v26, 0x3f7d64f0, v122
	v_fmamk_f32 v121, v25, 0x3f4178ce, v39
	v_add_f32_e32 v31, v115, v31
	v_fma_f32 v34, 0xbf27a4f4, v123, -v34
	v_fmac_f32_e32 v39, 0xbf4178ce, v25
	v_fmamk_f32 v115, v123, 0xbe11bafb, v26
	v_add_f32_e32 v27, v121, v27
	v_mul_f32_e32 v121, 0xbe11bafb, v24
	v_add_f32_e32 v34, v34, v36
	v_add_f32_e32 v36, v39, v68
	;; [unrolled: 1-line block ×3, first 2 shown]
	v_fma_f32 v26, 0xbe11bafb, v123, -v26
	v_fmamk_f32 v68, v25, 0xbf7d64f0, v121
	v_mul_f32_e32 v115, 0x3f575c64, v24
	v_mul_f32_e32 v39, 0xbf0a6770, v122
	v_fmac_f32_e32 v121, 0x3f7d64f0, v25
	v_add_f32_e32 v119, v119, v125
	v_add_f32_e32 v68, v68, v104
	;; [unrolled: 1-line block ×3, first 2 shown]
	v_fmamk_f32 v23, v25, 0x3f0a6770, v115
	v_fmamk_f32 v124, v123, 0x3f575c64, v39
	v_mul_f32_e32 v26, 0xbe903f40, v122
	v_fma_f32 v39, 0x3f575c64, v123, -v39
	v_fmac_f32_e32 v115, 0xbf0a6770, v25
	v_add_f32_e32 v117, v23, v117
	v_mul_f32_e32 v23, 0xbf75a155, v24
	v_add_f32_e32 v38, v121, v38
	v_fmamk_f32 v121, v123, 0xbf75a155, v26
	v_add_f32_e32 v39, v39, v105
	v_add_f32_e32 v105, v115, v114
	v_mul_f32_e32 v114, 0x3f68dda4, v122
	v_fmamk_f32 v115, v25, 0x3e903f40, v23
	v_fma_f32 v26, 0xbf75a155, v123, -v26
	v_fmac_f32_e32 v23, 0xbe903f40, v25
	v_add_f32_e32 v116, v121, v116
	v_fmamk_f32 v121, v123, 0x3ed4b147, v114
	v_add_f32_e32 v115, v115, v118
	v_mul_f32_e32 v24, 0x3ed4b147, v24
	v_add_f32_e32 v113, v26, v113
	v_add_f32_e32 v118, v23, v120
	v_sub_f32_e32 v120, v28, v29
	v_fma_f32 v26, 0x3ed4b147, v123, -v114
	v_add_f32_e32 v114, v28, v29
	v_add_f32_e32 v119, v121, v119
	v_fmamk_f32 v23, v25, 0xbf68dda4, v24
	v_add_f32_e32 v121, v33, v35
	v_mul_f32_e32 v28, 0xbe903f40, v120
	v_fmac_f32_e32 v24, 0x3f68dda4, v25
	v_sub_f32_e32 v122, v33, v35
	v_mul_f32_e32 v25, 0xbf75a155, v114
	v_add_f32_e32 v112, v124, v112
	v_add_f32_e32 v69, v23, v69
	v_fmamk_f32 v23, v121, 0xbf75a155, v28
	v_add_f32_e32 v124, v24, v22
	v_fmamk_f32 v24, v122, 0x3e903f40, v25
	v_mul_f32_e32 v29, 0x3f0a6770, v120
	v_add_f32_e32 v123, v26, v30
	v_add_f32_e32 v22, v23, v31
	v_fma_f32 v26, 0xbf75a155, v121, -v28
	v_add_f32_e32 v23, v24, v27
	v_fmamk_f32 v27, v121, 0x3f575c64, v29
	v_mul_f32_e32 v30, 0x3f575c64, v114
	v_mul_f32_e32 v31, 0xbf4178ce, v120
	v_add_f32_e32 v24, v26, v34
	v_mul_f32_e32 v33, 0xbf27a4f4, v114
	v_add_f32_e32 v26, v27, v32
	v_fmamk_f32 v27, v122, 0xbf0a6770, v30
	v_fmac_f32_e32 v30, 0x3f0a6770, v122
	v_fmamk_f32 v32, v121, 0xbf27a4f4, v31
	v_fmac_f32_e32 v25, 0xbe903f40, v122
	v_fma_f32 v28, 0x3f575c64, v121, -v29
	v_mul_f32_e32 v34, 0x3f68dda4, v120
	v_add_f32_e32 v29, v30, v38
	v_add_f32_e32 v30, v32, v112
	v_fmamk_f32 v32, v122, 0x3f4178ce, v33
	v_fmac_f32_e32 v33, 0xbf4178ce, v122
	v_fma_f32 v35, 0xbf27a4f4, v121, -v31
	v_add_f32_e32 v25, v25, v36
	v_add_f32_e32 v27, v27, v68
	v_mul_f32_e32 v36, 0x3ed4b147, v114
	v_add_f32_e32 v33, v33, v105
	v_mul_f32_e32 v68, 0xbf7d64f0, v120
	v_mul_f32_e32 v105, 0xbe11bafb, v114
	v_add_f32_e32 v31, v32, v117
	v_fmamk_f32 v38, v121, 0x3ed4b147, v34
	v_add_f32_e32 v32, v35, v39
	v_fma_f32 v39, 0x3ed4b147, v121, -v34
	v_add_f32_e32 v28, v28, v104
	v_fmamk_f32 v35, v122, 0xbf68dda4, v36
	v_fmamk_f32 v104, v121, 0xbe11bafb, v68
	v_fmamk_f32 v112, v122, 0x3f7d64f0, v105
	v_add_f32_e32 v34, v38, v116
	v_add_f32_e32 v38, v39, v113
	v_fmac_f32_e32 v36, 0x3f68dda4, v122
	v_fma_f32 v113, 0xbe11bafb, v121, -v68
	v_fmac_f32_e32 v105, 0xbf7d64f0, v122
	v_add_f32_e32 v35, v35, v115
	v_add_f32_e32 v68, v104, v119
	v_add_f32_e32 v69, v112, v69
	v_add_f32_e32 v39, v36, v118
	v_add_f32_e32 v104, v113, v123
	v_add_f32_e32 v105, v105, v124
	buffer_gl0_inv
	ds_write2_b64 v167, v[20:21], v[22:23] offset1:2
	ds_write2_b64 v167, v[26:27], v[30:31] offset0:4 offset1:6
	ds_write2_b64 v167, v[34:35], v[68:69] offset0:8 offset1:10
	ds_write2_b64 v167, v[104:105], v[38:39] offset0:12 offset1:14
	ds_write2_b64 v167, v[32:33], v[28:29] offset0:16 offset1:18
	ds_write_b64 v167, v[24:25] offset:160
	s_and_saveexec_b32 s0, vcc_lo
	s_cbranch_execz .LBB0_9
; %bb.8:
	v_mul_f32_e32 v20, v19, v161
	v_mul_f32_e32 v21, v9, v108
	;; [unrolled: 1-line block ×5, first 2 shown]
	v_fma_f32 v20, v18, v162, -v20
	v_fma_f32 v21, v8, v109, -v21
	v_mul_f32_e32 v23, v11, v110
	v_fmac_f32_e32 v9, v8, v108
	v_fmac_f32_e32 v19, v18, v161
	v_fma_f32 v22, v16, v67, -v22
	v_add_f32_e32 v18, v20, v21
	v_fma_f32 v23, v10, v111, -v23
	v_mul_f32_e32 v11, v11, v111
	v_mul_f32_e32 v17, v17, v67
	v_sub_f32_e32 v25, v9, v19
	v_mul_f32_e32 v24, 0xbf75a155, v18
	v_add_f32_e32 v26, v22, v23
	v_fmac_f32_e32 v11, v10, v110
	v_fmac_f32_e32 v17, v16, v66
	v_mul_f32_e32 v27, v15, v64
	v_fmamk_f32 v10, v25, 0x3e903f40, v24
	v_mul_f32_e32 v16, 0x3f575c64, v26
	v_mul_f32_e32 v28, v5, v70
	v_sub_f32_e32 v8, v11, v17
	v_mul_f32_e32 v31, v7, v80
	v_mul_f32_e32 v33, v7, v81
	v_add_f32_e32 v10, v107, v10
	v_fma_f32 v27, v14, v65, -v27
	v_fmamk_f32 v29, v8, 0xbf0a6770, v16
	v_fma_f32 v28, v4, v71, -v28
	v_mul_f32_e32 v30, v5, v71
	v_mul_f32_e32 v15, v15, v65
	;; [unrolled: 1-line block ×3, first 2 shown]
	v_fma_f32 v31, v6, v81, -v31
	v_fmac_f32_e32 v33, v6, v80
	v_mul_f32_e32 v6, v3, v100
	v_add_f32_e32 v32, v27, v28
	v_fmac_f32_e32 v30, v4, v70
	v_fmac_f32_e32 v15, v14, v64
	v_fma_f32 v14, v12, v103, -v5
	v_mul_f32_e32 v13, v13, v103
	v_add_f32_e32 v4, v29, v10
	v_mul_f32_e32 v7, v1, v82
	v_fma_f32 v10, v2, v101, -v6
	v_sub_f32_e32 v6, v21, v20
	v_mul_f32_e32 v34, 0xbf27a4f4, v32
	v_sub_f32_e32 v35, v30, v15
	v_add_f32_e32 v36, v14, v31
	v_fmac_f32_e32 v13, v12, v102
	v_fma_f32 v12, v0, v83, -v7
	v_mul_f32_e32 v39, v1, v83
	v_mul_f32_e32 v64, v3, v101
	v_add_f32_e32 v65, v19, v9
	v_mul_f32_e32 v66, 0xbe903f40, v6
	v_sub_f32_e32 v68, v23, v22
	v_fmamk_f32 v5, v35, 0x3f4178ce, v34
	v_mul_f32_e32 v29, 0x3ed4b147, v36
	v_sub_f32_e32 v38, v33, v13
	v_add_f32_e32 v67, v10, v12
	v_fmac_f32_e32 v39, v0, v82
	v_fmac_f32_e32 v64, v2, v100
	v_fmamk_f32 v0, v65, 0xbf75a155, v66
	v_add_f32_e32 v69, v17, v11
	v_mul_f32_e32 v70, 0x3f0a6770, v68
	v_sub_f32_e32 v80, v28, v27
	v_add_f32_e32 v4, v5, v4
	v_fmamk_f32 v5, v38, 0xbf68dda4, v29
	v_mul_f32_e32 v71, 0xbe11bafb, v67
	v_sub_f32_e32 v81, v39, v64
	v_add_f32_e32 v0, v106, v0
	v_fmamk_f32 v1, v69, 0x3f575c64, v70
	v_add_f32_e32 v82, v15, v30
	v_mul_f32_e32 v83, 0xbf4178ce, v80
	v_sub_f32_e32 v100, v31, v14
	v_add_f32_e32 v4, v5, v4
	v_fmamk_f32 v2, v81, 0x3f7d64f0, v71
	v_add_f32_e32 v0, v1, v0
	v_fmamk_f32 v3, v82, 0xbf27a4f4, v83
	v_mul_f32_e32 v101, 0xbf27a4f4, v18
	v_add_f32_e32 v102, v13, v33
	v_mul_f32_e32 v103, 0x3f68dda4, v100
	v_sub_f32_e32 v104, v12, v10
	v_add_f32_e32 v1, v2, v4
	v_add_f32_e32 v0, v3, v0
	v_fmamk_f32 v2, v25, 0x3f4178ce, v101
	v_mul_f32_e32 v105, 0xbe11bafb, v26
	v_fmamk_f32 v3, v102, 0x3ed4b147, v103
	v_add_f32_e32 v108, v64, v39
	v_mul_f32_e32 v109, 0xbf7d64f0, v104
	v_add_f32_e32 v2, v107, v2
	v_fmamk_f32 v4, v8, 0xbf7d64f0, v105
	v_mul_f32_e32 v110, 0x3f575c64, v32
	v_add_f32_e32 v0, v3, v0
	v_fmamk_f32 v3, v108, 0xbe11bafb, v109
	;; [unrolled: 3-line block ×21, first 2 shown]
	v_mul_f32_e32 v161, 0xbf75a155, v32
	v_add_f32_e32 v4, v125, v4
	v_mul_f32_e32 v125, 0xbf68dda4, v6
	v_fmamk_f32 v162, v108, 0xbf27a4f4, v130
	v_add_f32_e32 v7, v131, v7
	v_fmamk_f32 v131, v35, 0xbe903f40, v161
	v_mul_f32_e32 v167, 0xbe11bafb, v36
	v_fmamk_f32 v172, v65, 0x3ed4b147, v125
	v_mul_f32_e32 v173, 0xbf4178ce, v68
	v_add_f32_e32 v4, v162, v4
	v_add_f32_e32 v7, v131, v7
	v_fmamk_f32 v131, v38, 0xbf7d64f0, v167
	v_add_f32_e32 v162, v106, v172
	v_fmamk_f32 v172, v69, 0xbf27a4f4, v173
	v_mul_f32_e32 v174, 0x3e903f40, v80
	v_mul_f32_e32 v175, 0x3f575c64, v18
	v_add_f32_e32 v7, v131, v7
	v_mul_f32_e32 v131, 0x3f575c64, v67
	v_add_f32_e32 v18, v172, v162
	v_fmamk_f32 v162, v82, 0xbf75a155, v174
	v_fmamk_f32 v172, v25, 0x3f0a6770, v175
	v_mul_f32_e32 v26, 0x3ed4b147, v26
	v_fmamk_f32 v176, v81, 0xbf0a6770, v131
	v_mul_f32_e32 v177, 0x3f7d64f0, v100
	v_add_f32_e32 v18, v162, v18
	v_add_f32_e32 v162, v107, v172
	v_fmamk_f32 v172, v8, 0x3f68dda4, v26
	v_mul_f32_e32 v32, 0xbe11bafb, v32
	v_add_f32_e32 v21, v21, v107
	v_add_f32_e32 v9, v106, v9
	v_fmamk_f32 v178, v102, 0xbe11bafb, v177
	v_add_f32_e32 v7, v176, v7
	v_mul_f32_e32 v176, 0x3f0a6770, v104
	v_add_f32_e32 v162, v172, v162
	v_fmamk_f32 v172, v35, 0x3f7d64f0, v32
	v_mul_f32_e32 v36, 0xbf27a4f4, v36
	v_add_f32_e32 v21, v23, v21
	v_add_f32_e32 v9, v11, v9
	;; [unrolled: 1-line block ×3, first 2 shown]
	v_fmamk_f32 v178, v108, 0x3f575c64, v176
	v_add_f32_e32 v162, v172, v162
	v_fmamk_f32 v23, v38, 0x3f4178ce, v36
	v_mul_f32_e32 v172, 0xbf0a6770, v6
	v_add_f32_e32 v11, v28, v21
	v_add_f32_e32 v9, v30, v9
	;; [unrolled: 1-line block ×4, first 2 shown]
	v_fmamk_f32 v21, v65, 0x3f575c64, v172
	v_mul_f32_e32 v23, 0xbf68dda4, v68
	v_add_f32_e32 v11, v31, v11
	v_add_f32_e32 v9, v33, v9
	v_mul_f32_e32 v28, 0xbf75a155, v67
	v_add_f32_e32 v21, v106, v21
	v_fmamk_f32 v30, v69, 0x3ed4b147, v23
	v_add_f32_e32 v11, v12, v11
	v_mul_f32_e32 v31, 0xbf7d64f0, v80
	v_add_f32_e32 v9, v39, v9
	v_fmamk_f32 v12, v81, 0x3e903f40, v28
	v_add_f32_e32 v21, v30, v21
	v_add_f32_e32 v11, v10, v11
	v_fmamk_f32 v30, v82, 0xbe11bafb, v31
	v_mul_f32_e32 v33, 0xbf4178ce, v100
	v_add_f32_e32 v9, v64, v9
	v_add_f32_e32 v10, v12, v18
	;; [unrolled: 1-line block ×4, first 2 shown]
	v_fmamk_f32 v14, v102, 0xbf27a4f4, v33
	v_mul_f32_e32 v21, 0xbe903f40, v104
	v_add_f32_e32 v9, v13, v9
	v_fmac_f32_e32 v24, 0xbe903f40, v25
	v_add_f32_e32 v11, v27, v11
	v_add_f32_e32 v12, v14, v12
	v_fmamk_f32 v13, v108, 0xbf75a155, v21
	v_add_f32_e32 v14, v15, v9
	v_add_f32_e32 v15, v107, v24
	v_fmac_f32_e32 v16, 0x3f0a6770, v8
	v_add_f32_e32 v11, v22, v11
	v_add_f32_e32 v9, v13, v12
	;; [unrolled: 1-line block ×3, first 2 shown]
	v_fma_f32 v14, 0xbf75a155, v65, -v66
	v_add_f32_e32 v15, v16, v15
	v_fmac_f32_e32 v34, 0xbf4178ce, v35
	v_add_f32_e32 v12, v20, v11
	v_add_f32_e32 v11, v19, v13
	;; [unrolled: 1-line block ×3, first 2 shown]
	v_fma_f32 v14, 0x3f575c64, v69, -v70
	v_add_f32_e32 v15, v34, v15
	v_fmac_f32_e32 v29, 0x3f68dda4, v38
	v_fmac_f32_e32 v71, 0xbf7d64f0, v81
	v_fma_f32 v17, 0x3ed4b147, v102, -v103
	v_add_f32_e32 v13, v14, v13
	v_fma_f32 v14, 0xbf27a4f4, v82, -v83
	v_add_f32_e32 v15, v29, v15
	v_fma_f32 v18, 0xbe11bafb, v69, -v113
	v_fmac_f32_e32 v116, 0xbf7d64f0, v25
	v_fmac_f32_e32 v118, 0x3e903f40, v8
	v_add_f32_e32 v13, v14, v13
	v_add_f32_e32 v14, v71, v15
	v_fma_f32 v15, 0xbf27a4f4, v65, -v111
	v_add_f32_e32 v19, v107, v116
	v_fma_f32 v20, 0xbf75a155, v69, -v124
	;; [unrolled: 2-line block ×3, first 2 shown]
	v_add_f32_e32 v15, v106, v15
	v_add_f32_e32 v19, v118, v19
	v_fmac_f32_e32 v120, 0x3f68dda4, v35
	v_fmac_f32_e32 v123, 0xbf0a6770, v38
	v_add_f32_e32 v13, v17, v13
	v_add_f32_e32 v15, v18, v15
	v_fma_f32 v17, 0x3f575c64, v82, -v115
	v_fma_f32 v18, 0xbe11bafb, v65, -v121
	v_add_f32_e32 v19, v120, v19
	v_fmac_f32_e32 v122, 0xbf4178ce, v81
	v_fma_f32 v22, 0x3ed4b147, v65, -v125
	v_add_f32_e32 v15, v17, v15
	v_fma_f32 v17, 0xbf75a155, v102, -v117
	v_add_f32_e32 v18, v106, v18
	v_add_f32_e32 v19, v123, v19
	v_fma_f32 v24, 0xbf27a4f4, v108, -v130
	v_fmac_f32_e32 v175, 0xbf0a6770, v25
	v_add_f32_e32 v15, v17, v15
	v_fma_f32 v17, 0x3ed4b147, v108, -v119
	v_add_f32_e32 v18, v20, v18
	v_fma_f32 v20, 0x3ed4b147, v82, -v126
	v_fmac_f32_e32 v101, 0xbf4178ce, v25
	v_fmac_f32_e32 v127, 0xbf68dda4, v25
	v_add_f32_e32 v15, v17, v15
	v_add_f32_e32 v25, v107, v175
	;; [unrolled: 1-line block ×3, first 2 shown]
	v_fma_f32 v18, 0x3f575c64, v102, -v128
	v_fmac_f32_e32 v26, 0xbf68dda4, v8
	v_add_f32_e32 v16, v107, v101
	v_fmac_f32_e32 v105, 0x3f7d64f0, v8
	v_add_f32_e32 v20, v107, v127
	v_add_f32_e32 v17, v18, v17
	;; [unrolled: 1-line block ×4, first 2 shown]
	v_fma_f32 v22, 0xbf27a4f4, v69, -v173
	v_fmac_f32_e32 v129, 0xbf4178ce, v8
	v_add_f32_e32 v17, v24, v17
	v_fma_f32 v24, 0x3f575c64, v65, -v172
	v_fmac_f32_e32 v32, 0xbf7d64f0, v35
	v_add_f32_e32 v19, v22, v19
	v_fma_f32 v22, 0xbf75a155, v82, -v174
	v_add_f32_e32 v16, v105, v16
	v_fmac_f32_e32 v110, 0xbf0a6770, v35
	v_add_f32_e32 v20, v129, v20
	v_fmac_f32_e32 v161, 0x3e903f40, v35
	v_add_f32_e32 v8, v22, v19
	v_add_f32_e32 v19, v106, v24
	v_fma_f32 v22, 0x3ed4b147, v69, -v23
	v_fma_f32 v23, 0xbe11bafb, v102, -v177
	v_add_f32_e32 v24, v26, v25
	v_add_f32_e32 v16, v110, v16
	v_fmac_f32_e32 v112, 0xbe903f40, v38
	v_add_f32_e32 v19, v22, v19
	v_fma_f32 v22, 0xbe11bafb, v82, -v31
	v_add_f32_e32 v8, v23, v8
	v_add_f32_e32 v23, v32, v24
	v_mul_u32_u24_e32 v24, 22, v168
	v_add_f32_e32 v20, v161, v20
	v_fmac_f32_e32 v167, 0x3f7d64f0, v38
	v_fmac_f32_e32 v36, 0xbf4178ce, v38
	v_add_f32_e32 v19, v22, v19
	v_fma_f32 v22, 0xbf27a4f4, v102, -v33
	v_or_b32_e32 v24, v24, v166
	v_add_f32_e32 v16, v112, v16
	v_fmac_f32_e32 v114, 0x3f68dda4, v81
	v_add_f32_e32 v20, v167, v20
	v_fmac_f32_e32 v131, 0x3f0a6770, v81
	v_fma_f32 v25, 0x3f575c64, v108, -v176
	v_add_f32_e32 v23, v36, v23
	v_fmac_f32_e32 v28, 0xbe903f40, v81
	v_add_f32_e32 v26, v22, v19
	v_fma_f32 v21, 0xbf75a155, v108, -v21
	v_lshl_add_u32 v24, v24, 3, v165
	v_add_f32_e32 v16, v114, v16
	v_add_f32_e32 v20, v131, v20
	;; [unrolled: 1-line block ×5, first 2 shown]
	ds_write2_b64 v24, v[11:12], v[9:10] offset1:2
	ds_write2_b64 v24, v[6:7], v[4:5] offset0:4 offset1:6
	ds_write2_b64 v24, v[2:3], v[0:1] offset0:8 offset1:10
	;; [unrolled: 1-line block ×4, first 2 shown]
	ds_write_b64 v24, v[21:22] offset:160
.LBB0_9:
	s_or_b32 exec_lo, exec_lo, s0
	s_waitcnt lgkmcnt(0)
	s_barrier
	buffer_gl0_inv
	ds_read2_b64 v[4:7], v164 offset0:154 offset1:231
	v_add_nc_u32_e32 v1, 0x800, v164
	v_add_nc_u32_e32 v3, 0xc00, v164
	v_add_nc_u32_e32 v2, 0x1000, v164
	v_add_nc_u32_e32 v0, 0x1800, v164
	s_mov_b32 s0, 0xdbe74d6b
	ds_read2_b64 v[8:11], v1 offset0:52 offset1:129
	ds_read2_b64 v[12:15], v3 offset0:78 offset1:155
	;; [unrolled: 1-line block ×5, first 2 shown]
	ds_read2_b64 v[28:31], v164 offset1:77
	s_waitcnt lgkmcnt(0)
	s_barrier
	buffer_gl0_inv
	s_mov_b32 s1, 0x3f4e65a3
	s_mul_i32 s2, s9, 0x10d8
	s_mul_hi_u32 s3, s8, 0x10d8
	s_add_i32 s2, s3, s2
	s_mul_i32 s3, s8, 0x10d8
	v_mul_f32_e32 v32, v61, v5
	v_mul_f32_e32 v33, v61, v4
	v_fmac_f32_e32 v32, v60, v4
	v_fma_f32 v4, v60, v5, -v33
	v_mul_f32_e32 v5, v63, v9
	v_mul_f32_e32 v33, v63, v8
	;; [unrolled: 1-line block ×7, first 2 shown]
	v_fmac_f32_e32 v5, v62, v8
	v_fma_f32 v8, v62, v9, -v33
	v_fma_f32 v9, v56, v13, -v35
	v_fmac_f32_e32 v39, v52, v20
	v_mul_f32_e32 v13, v53, v20
	v_mul_f32_e32 v20, v49, v7
	;; [unrolled: 1-line block ×3, first 2 shown]
	v_fmac_f32_e32 v34, v56, v12
	v_fmac_f32_e32 v36, v58, v16
	v_fma_f32 v12, v58, v17, -v38
	v_mul_f32_e32 v16, v55, v25
	v_mul_f32_e32 v17, v55, v24
	v_fma_f32 v13, v52, v21, -v13
	v_fmac_f32_e32 v20, v48, v6
	v_fma_f32 v21, v48, v7, -v33
	v_mul_f32_e32 v6, v51, v10
	v_mul_f32_e32 v7, v45, v14
	;; [unrolled: 1-line block ×3, first 2 shown]
	v_fmac_f32_e32 v16, v54, v24
	v_fma_f32 v17, v54, v25, -v17
	v_mul_f32_e32 v24, v51, v11
	v_mul_f32_e32 v25, v45, v15
	v_fma_f32 v35, v50, v11, -v6
	v_fma_f32 v38, v44, v15, -v7
	v_fmac_f32_e32 v33, v46, v18
	v_mul_f32_e32 v6, v47, v18
	v_mul_f32_e32 v18, v41, v23
	;; [unrolled: 1-line block ×3, first 2 shown]
	v_fmac_f32_e32 v24, v50, v10
	v_fmac_f32_e32 v25, v44, v14
	v_mul_f32_e32 v10, v43, v26
	v_fma_f32 v19, v46, v19, -v6
	v_fmac_f32_e32 v18, v40, v22
	v_fma_f32 v22, v40, v23, -v7
	v_add_f32_e32 v6, v32, v16
	v_add_f32_e32 v7, v4, v17
	;; [unrolled: 1-line block ×4, first 2 shown]
	v_mul_f32_e32 v41, v43, v27
	v_fma_f32 v23, v42, v27, -v10
	v_sub_f32_e32 v10, v32, v16
	v_sub_f32_e32 v4, v4, v17
	;; [unrolled: 1-line block ×4, first 2 shown]
	v_add_f32_e32 v13, v34, v36
	v_add_f32_e32 v15, v9, v12
	v_sub_f32_e32 v16, v36, v34
	v_sub_f32_e32 v9, v12, v9
	v_add_f32_e32 v12, v11, v6
	v_add_f32_e32 v17, v14, v7
	v_fmac_f32_e32 v41, v42, v26
	v_sub_f32_e32 v26, v11, v6
	v_sub_f32_e32 v27, v14, v7
	;; [unrolled: 1-line block ×6, first 2 shown]
	v_add_f32_e32 v32, v16, v5
	v_add_f32_e32 v34, v9, v8
	v_sub_f32_e32 v36, v16, v5
	v_sub_f32_e32 v39, v9, v8
	v_sub_f32_e32 v40, v5, v10
	v_add_f32_e32 v12, v13, v12
	v_add_f32_e32 v13, v15, v17
	v_sub_f32_e32 v8, v8, v4
	v_sub_f32_e32 v16, v10, v16
	;; [unrolled: 1-line block ×3, first 2 shown]
	v_add_f32_e32 v10, v32, v10
	v_add_f32_e32 v15, v34, v4
	;; [unrolled: 1-line block ×4, first 2 shown]
	v_mul_f32_e32 v6, 0x3f4a47b2, v6
	v_mul_f32_e32 v7, 0x3f4a47b2, v7
	;; [unrolled: 1-line block ×8, first 2 shown]
	v_fmamk_f32 v12, v12, 0xbf955555, v4
	v_fmamk_f32 v13, v13, 0xbf955555, v5
	;; [unrolled: 1-line block ×4, first 2 shown]
	v_fma_f32 v17, 0x3f3bfb3b, v26, -v17
	v_fma_f32 v28, 0x3f3bfb3b, v27, -v28
	;; [unrolled: 1-line block ×4, first 2 shown]
	v_fmamk_f32 v26, v16, 0xbeae86e6, v29
	v_fmamk_f32 v27, v9, 0xbeae86e6, v32
	v_fma_f32 v29, 0xbf5ff5aa, v40, -v29
	v_fma_f32 v32, 0xbf5ff5aa, v8, -v32
	;; [unrolled: 1-line block ×4, first 2 shown]
	v_add_f32_e32 v36, v11, v12
	v_add_f32_e32 v39, v14, v13
	;; [unrolled: 1-line block ×6, first 2 shown]
	v_fmac_f32_e32 v26, 0xbee1c552, v10
	v_fmac_f32_e32 v27, 0xbee1c552, v15
	;; [unrolled: 1-line block ×6, first 2 shown]
	v_add_f32_e32 v6, v27, v36
	v_sub_f32_e32 v7, v39, v26
	v_add_f32_e32 v8, v34, v28
	v_sub_f32_e32 v9, v40, v16
	v_sub_f32_e32 v10, v14, v32
	v_add_f32_e32 v11, v29, v17
	v_add_f32_e32 v12, v32, v14
	v_sub_f32_e32 v13, v17, v29
	v_sub_f32_e32 v14, v28, v34
	v_add_f32_e32 v15, v16, v40
	v_sub_f32_e32 v16, v36, v27
	v_add_f32_e32 v17, v26, v39
	v_add_f32_e32 v26, v20, v41
	;; [unrolled: 1-line block ×3, first 2 shown]
	v_sub_f32_e32 v21, v21, v23
	v_add_f32_e32 v23, v24, v18
	v_add_f32_e32 v28, v35, v22
	v_sub_f32_e32 v20, v20, v41
	v_sub_f32_e32 v18, v24, v18
	;; [unrolled: 1-line block ×3, first 2 shown]
	v_add_f32_e32 v24, v25, v33
	v_add_f32_e32 v29, v38, v19
	v_sub_f32_e32 v25, v33, v25
	v_sub_f32_e32 v19, v19, v38
	v_add_f32_e32 v32, v23, v26
	v_add_f32_e32 v33, v28, v27
	v_sub_f32_e32 v34, v23, v26
	v_sub_f32_e32 v35, v28, v27
	;; [unrolled: 1-line block ×6, first 2 shown]
	v_add_f32_e32 v36, v25, v18
	v_add_f32_e32 v38, v19, v22
	v_sub_f32_e32 v39, v25, v18
	v_sub_f32_e32 v40, v19, v22
	;; [unrolled: 1-line block ×3, first 2 shown]
	v_add_f32_e32 v24, v24, v32
	v_add_f32_e32 v29, v29, v33
	v_sub_f32_e32 v22, v22, v21
	v_sub_f32_e32 v25, v20, v25
	;; [unrolled: 1-line block ×3, first 2 shown]
	v_add_f32_e32 v20, v36, v20
	v_add_f32_e32 v21, v38, v21
	v_add_f32_e32 v18, v30, v24
	v_add_f32_e32 v19, v31, v29
	v_mul_f32_e32 v26, 0x3f4a47b2, v26
	v_mul_f32_e32 v27, 0x3f4a47b2, v27
	;; [unrolled: 1-line block ×8, first 2 shown]
	v_fmamk_f32 v24, v24, 0xbf955555, v18
	v_fmamk_f32 v29, v29, 0xbf955555, v19
	;; [unrolled: 1-line block ×4, first 2 shown]
	v_fma_f32 v30, 0x3f3bfb3b, v34, -v30
	v_fma_f32 v31, 0x3f3bfb3b, v35, -v31
	;; [unrolled: 1-line block ×4, first 2 shown]
	v_fmamk_f32 v34, v25, 0xbeae86e6, v32
	v_fmamk_f32 v35, v41, 0xbeae86e6, v33
	v_fma_f32 v32, 0xbf5ff5aa, v42, -v32
	v_fma_f32 v33, 0xbf5ff5aa, v22, -v33
	;; [unrolled: 1-line block ×4, first 2 shown]
	v_add_f32_e32 v39, v23, v24
	v_add_f32_e32 v40, v28, v29
	v_add_f32_e32 v28, v30, v24
	v_add_f32_e32 v30, v31, v29
	v_add_f32_e32 v31, v26, v24
	v_add_f32_e32 v29, v27, v29
	v_fmac_f32_e32 v34, 0xbee1c552, v20
	v_fmac_f32_e32 v35, 0xbee1c552, v21
	v_fmac_f32_e32 v32, 0xbee1c552, v20
	v_fmac_f32_e32 v38, 0xbee1c552, v21
	v_fmac_f32_e32 v36, 0xbee1c552, v20
	v_fmac_f32_e32 v33, 0xbee1c552, v21
	v_add_f32_e32 v20, v35, v39
	v_sub_f32_e32 v21, v40, v34
	v_add_f32_e32 v22, v38, v31
	v_sub_f32_e32 v23, v29, v36
	v_sub_f32_e32 v24, v28, v33
	v_add_f32_e32 v25, v32, v30
	v_add_f32_e32 v26, v33, v28
	v_sub_f32_e32 v27, v30, v32
	v_sub_f32_e32 v28, v31, v38
	v_add_f32_e32 v29, v36, v29
	v_sub_f32_e32 v30, v39, v35
	v_add_f32_e32 v31, v34, v40
	ds_write2_b64 v170, v[4:5], v[6:7] offset1:22
	ds_write2_b64 v170, v[8:9], v[10:11] offset0:44 offset1:66
	ds_write2_b64 v170, v[12:13], v[14:15] offset0:88 offset1:110
	ds_write_b64 v170, v[16:17] offset:1056
	ds_write2_b64 v169, v[18:19], v[20:21] offset1:22
	ds_write2_b64 v169, v[22:23], v[24:25] offset0:44 offset1:66
	ds_write2_b64 v169, v[26:27], v[28:29] offset0:88 offset1:110
	ds_write_b64 v169, v[30:31] offset:1056
	s_waitcnt lgkmcnt(0)
	s_barrier
	buffer_gl0_inv
	ds_read2_b64 v[4:7], v164 offset0:154 offset1:231
	ds_read2_b64 v[8:11], v1 offset0:52 offset1:129
	;; [unrolled: 1-line block ×6, first 2 shown]
	ds_read2_b64 v[28:31], v164 offset1:77
	s_waitcnt lgkmcnt(6)
	v_mul_f32_e32 v32, v89, v5
	v_mul_f32_e32 v33, v89, v4
	s_waitcnt lgkmcnt(5)
	v_mul_f32_e32 v34, v91, v9
	v_mul_f32_e32 v35, v91, v8
	s_waitcnt lgkmcnt(2)
	v_mul_f32_e32 v36, v93, v21
	v_fmac_f32_e32 v32, v88, v4
	v_fma_f32 v4, v88, v5, -v33
	v_fmac_f32_e32 v34, v90, v8
	v_fma_f32 v5, v90, v9, -v35
	v_mul_f32_e32 v8, v97, v13
	v_mul_f32_e32 v9, v97, v12
	;; [unrolled: 1-line block ×4, first 2 shown]
	v_fmac_f32_e32 v36, v92, v20
	v_fmac_f32_e32 v8, v96, v12
	v_fma_f32 v9, v96, v13, -v9
	v_fma_f32 v12, v98, v17, -v35
	v_mul_f32_e32 v13, v93, v20
	v_mul_f32_e32 v20, v85, v7
	;; [unrolled: 1-line block ×3, first 2 shown]
	v_fmac_f32_e32 v33, v98, v16
	s_waitcnt lgkmcnt(1)
	v_mul_f32_e32 v16, v95, v25
	v_mul_f32_e32 v17, v95, v24
	v_fma_f32 v13, v92, v21, -v13
	v_fmac_f32_e32 v20, v84, v6
	v_fma_f32 v21, v84, v7, -v35
	v_mul_f32_e32 v6, v87, v10
	v_mul_f32_e32 v7, v77, v14
	;; [unrolled: 1-line block ×3, first 2 shown]
	v_fmac_f32_e32 v16, v94, v24
	v_fma_f32 v17, v94, v25, -v17
	v_mul_f32_e32 v24, v87, v11
	v_mul_f32_e32 v25, v77, v15
	v_fma_f32 v38, v86, v11, -v6
	v_fma_f32 v39, v76, v15, -v7
	v_fmac_f32_e32 v35, v78, v18
	v_mul_f32_e32 v6, v79, v18
	v_mul_f32_e32 v18, v73, v23
	;; [unrolled: 1-line block ×3, first 2 shown]
	v_fmac_f32_e32 v24, v86, v10
	v_fmac_f32_e32 v25, v76, v14
	v_mul_f32_e32 v10, v75, v26
	v_fma_f32 v19, v78, v19, -v6
	v_fmac_f32_e32 v18, v72, v22
	v_fma_f32 v22, v72, v23, -v7
	v_add_f32_e32 v6, v32, v16
	v_add_f32_e32 v7, v4, v17
	;; [unrolled: 1-line block ×4, first 2 shown]
	v_mul_f32_e32 v40, v75, v27
	v_fma_f32 v23, v74, v27, -v10
	v_sub_f32_e32 v10, v32, v16
	v_sub_f32_e32 v4, v4, v17
	;; [unrolled: 1-line block ×4, first 2 shown]
	v_add_f32_e32 v13, v8, v33
	v_add_f32_e32 v16, v9, v12
	v_sub_f32_e32 v8, v33, v8
	v_sub_f32_e32 v9, v12, v9
	v_add_f32_e32 v12, v11, v6
	v_add_f32_e32 v17, v14, v7
	v_fmac_f32_e32 v40, v74, v26
	v_sub_f32_e32 v26, v11, v6
	v_sub_f32_e32 v27, v14, v7
	;; [unrolled: 1-line block ×6, first 2 shown]
	v_add_f32_e32 v32, v8, v15
	v_add_f32_e32 v33, v9, v5
	v_sub_f32_e32 v34, v8, v15
	v_sub_f32_e32 v36, v9, v5
	v_add_f32_e32 v12, v13, v12
	v_add_f32_e32 v13, v16, v17
	v_sub_f32_e32 v8, v10, v8
	v_sub_f32_e32 v9, v4, v9
	;; [unrolled: 1-line block ×4, first 2 shown]
	v_add_f32_e32 v10, v32, v10
	v_add_f32_e32 v17, v33, v4
	s_waitcnt lgkmcnt(0)
	v_add_f32_e32 v4, v28, v12
	v_add_f32_e32 v5, v29, v13
	v_mul_f32_e32 v6, 0x3f4a47b2, v6
	v_mul_f32_e32 v7, 0x3f4a47b2, v7
	;; [unrolled: 1-line block ×8, first 2 shown]
	v_fmamk_f32 v12, v12, 0xbf955555, v4
	v_fmamk_f32 v13, v13, 0xbf955555, v5
	;; [unrolled: 1-line block ×4, first 2 shown]
	v_fma_f32 v28, 0x3f3bfb3b, v26, -v28
	v_fma_f32 v29, 0x3f3bfb3b, v27, -v29
	v_fma_f32 v6, 0xbf3bfb3b, v26, -v6
	v_fma_f32 v7, 0xbf3bfb3b, v27, -v7
	v_fmamk_f32 v26, v8, 0xbeae86e6, v32
	v_fmamk_f32 v27, v9, 0xbeae86e6, v33
	v_fma_f32 v15, 0xbf5ff5aa, v15, -v32
	v_fma_f32 v16, 0xbf5ff5aa, v16, -v33
	;; [unrolled: 1-line block ×4, first 2 shown]
	v_add_f32_e32 v34, v11, v12
	v_add_f32_e32 v36, v14, v13
	;; [unrolled: 1-line block ×4, first 2 shown]
	v_fmac_f32_e32 v26, 0xbee1c552, v10
	v_fmac_f32_e32 v27, 0xbee1c552, v17
	;; [unrolled: 1-line block ×4, first 2 shown]
	v_add_f32_e32 v29, v6, v12
	v_add_f32_e32 v41, v7, v13
	v_fmac_f32_e32 v33, 0xbee1c552, v17
	v_fmac_f32_e32 v32, 0xbee1c552, v10
	v_add_f32_e32 v6, v27, v34
	v_sub_f32_e32 v7, v36, v26
	v_sub_f32_e32 v10, v14, v16
	v_add_f32_e32 v11, v15, v28
	v_add_f32_e32 v12, v16, v14
	v_sub_f32_e32 v13, v28, v15
	v_sub_f32_e32 v16, v34, v27
	v_add_f32_e32 v17, v26, v36
	v_add_f32_e32 v26, v20, v40
	;; [unrolled: 1-line block ×3, first 2 shown]
	v_sub_f32_e32 v21, v21, v23
	v_add_f32_e32 v23, v24, v18
	v_add_f32_e32 v28, v38, v22
	;; [unrolled: 1-line block ×3, first 2 shown]
	v_sub_f32_e32 v9, v41, v32
	v_sub_f32_e32 v14, v29, v33
	v_add_f32_e32 v15, v32, v41
	v_sub_f32_e32 v18, v24, v18
	v_add_f32_e32 v24, v25, v35
	v_add_f32_e32 v29, v39, v19
	v_sub_f32_e32 v25, v35, v25
	v_add_f32_e32 v32, v23, v26
	v_add_f32_e32 v33, v28, v27
	v_sub_f32_e32 v22, v38, v22
	v_sub_f32_e32 v19, v19, v39
	v_sub_f32_e32 v20, v20, v40
	v_sub_f32_e32 v34, v23, v26
	v_sub_f32_e32 v35, v28, v27
	v_sub_f32_e32 v26, v26, v24
	v_sub_f32_e32 v27, v27, v29
	v_sub_f32_e32 v23, v24, v23
	v_sub_f32_e32 v28, v29, v28
	v_sub_f32_e32 v39, v25, v18
	v_add_f32_e32 v24, v24, v32
	v_add_f32_e32 v29, v29, v33
	v_sub_f32_e32 v40, v19, v22
	v_add_f32_e32 v36, v25, v18
	v_add_f32_e32 v38, v19, v22
	v_sub_f32_e32 v42, v18, v20
	v_sub_f32_e32 v22, v22, v21
	;; [unrolled: 1-line block ×4, first 2 shown]
	v_add_f32_e32 v18, v30, v24
	v_add_f32_e32 v19, v31, v29
	v_mul_f32_e32 v26, 0x3f4a47b2, v26
	v_mul_f32_e32 v27, 0x3f4a47b2, v27
	;; [unrolled: 1-line block ×6, first 2 shown]
	v_add_f32_e32 v20, v36, v20
	v_add_f32_e32 v21, v38, v21
	v_mul_f32_e32 v36, 0xbf5ff5aa, v42
	v_mul_f32_e32 v38, 0xbf5ff5aa, v22
	v_fmamk_f32 v24, v24, 0xbf955555, v18
	v_fmamk_f32 v29, v29, 0xbf955555, v19
	;; [unrolled: 1-line block ×4, first 2 shown]
	v_fma_f32 v30, 0x3f3bfb3b, v34, -v30
	v_fma_f32 v31, 0x3f3bfb3b, v35, -v31
	;; [unrolled: 1-line block ×3, first 2 shown]
	v_fmamk_f32 v34, v25, 0xbeae86e6, v32
	v_fma_f32 v32, 0xbf5ff5aa, v42, -v32
	v_fma_f32 v27, 0xbf3bfb3b, v35, -v27
	v_fmamk_f32 v35, v41, 0xbeae86e6, v33
	v_fma_f32 v33, 0xbf5ff5aa, v22, -v33
	v_fma_f32 v36, 0x3eae86e6, v25, -v36
	;; [unrolled: 1-line block ×3, first 2 shown]
	v_add_f32_e32 v40, v28, v29
	v_add_f32_e32 v28, v30, v24
	;; [unrolled: 1-line block ×3, first 2 shown]
	v_fmac_f32_e32 v32, 0xbee1c552, v20
	v_fmac_f32_e32 v33, 0xbee1c552, v21
	v_add_f32_e32 v39, v23, v24
	v_add_f32_e32 v31, v26, v24
	;; [unrolled: 1-line block ×3, first 2 shown]
	v_fmac_f32_e32 v34, 0xbee1c552, v20
	v_fmac_f32_e32 v35, 0xbee1c552, v21
	v_fmac_f32_e32 v38, 0xbee1c552, v21
	v_fmac_f32_e32 v36, 0xbee1c552, v20
	v_add_f32_e32 v25, v32, v30
	v_sub_f32_e32 v27, v30, v32
	v_add_nc_u32_e32 v32, 0x400, v164
	v_sub_f32_e32 v24, v28, v33
	v_add_f32_e32 v26, v33, v28
	v_add_nc_u32_e32 v33, 0x1200, v171
	v_add_f32_e32 v20, v35, v39
	v_sub_f32_e32 v21, v40, v34
	v_add_f32_e32 v22, v38, v31
	v_sub_f32_e32 v23, v29, v36
	ds_write_b64 v164, v[4:5]
	ds_write2_b64 v32, v[6:7], v[8:9] offset0:26 offset1:180
	ds_write_b64 v164, v[10:11] offset:3696
	ds_write2_b64 v33, v[12:13], v[14:15] offset0:40 offset1:194
	v_add_nc_u32_e32 v4, 0x400, v37
	v_add_nc_u32_e32 v5, 0xc00, v37
	v_sub_f32_e32 v28, v31, v38
	v_add_f32_e32 v29, v36, v29
	v_sub_f32_e32 v30, v39, v35
	v_add_f32_e32 v31, v34, v40
	v_add_nc_u32_e32 v6, 0x1800, v37
	ds_write_b64 v171, v[16:17] offset:7392
	ds_write_b64 v164, v[18:19] offset:616
	ds_write2_b64 v4, v[20:21], v[22:23] offset0:26 offset1:180
	ds_write2_b64 v5, v[24:25], v[26:27] offset0:78 offset1:232
	;; [unrolled: 1-line block ×3, first 2 shown]
	s_waitcnt lgkmcnt(0)
	s_barrier
	buffer_gl0_inv
	ds_read2_b64 v[4:7], v164 offset1:77
	ds_read2_b64 v[8:11], v3 offset0:78 offset1:155
	v_mad_u64_u32 v[14:15], null, s10, v140, 0
	s_waitcnt lgkmcnt(1)
	v_mul_f32_e32 v12, v156, v5
	v_mul_f32_e32 v13, v156, v4
	s_waitcnt lgkmcnt(0)
	v_mul_f32_e32 v18, v160, v10
	v_mul_f32_e32 v25, v152, v7
	;; [unrolled: 1-line block ×3, first 2 shown]
	v_fmac_f32_e32 v12, v155, v4
	v_fma_f32 v5, v155, v5, -v13
	v_mul_f32_e32 v37, v144, v8
	v_fmac_f32_e32 v25, v151, v6
	v_fmac_f32_e32 v36, v143, v8
	v_cvt_f64_f32_e32 v[3:4], v12
	v_cvt_f64_f32_e32 v[12:13], v5
	v_mul_f32_e32 v5, v160, v11
	v_fma_f32 v8, v143, v9, -v37
	v_fmac_f32_e32 v5, v159, v10
	v_cvt_f64_f32_e32 v[8:9], v8
	v_mul_f64 v[16:17], v[3:4], s[0:1]
	v_fma_f32 v3, v159, v11, -v18
	v_cvt_f64_f32_e32 v[10:11], v5
	v_mul_f64 v[12:13], v[12:13], s[0:1]
	v_mad_u64_u32 v[18:19], null, s8, v163, 0
	v_cvt_f64_f32_e32 v[20:21], v3
	ds_read2_b64 v[2:5], v2 offset0:104 offset1:181
	v_mul_f64 v[8:9], v[8:9], s[0:1]
	v_mad_u64_u32 v[22:23], null, s11, v140, v[15:16]
	v_cvt_f32_f64_e32 v16, v[16:17]
	v_cvt_f32_f64_e32 v17, v[12:13]
	s_waitcnt lgkmcnt(0)
	v_mul_f32_e32 v27, v158, v3
	v_mul_f32_e32 v31, v154, v4
	;; [unrolled: 1-line block ×3, first 2 shown]
	v_mov_b32_e32 v15, v22
	v_mad_u64_u32 v[22:23], null, s9, v163, v[19:20]
	v_mul_f32_e32 v19, v152, v6
	v_mul_f64 v[23:24], v[10:11], s[0:1]
	v_fmac_f32_e32 v27, v157, v2
	v_mul_f32_e32 v2, v158, v2
	v_lshlrev_b64 v[14:15], 3, v[14:15]
	v_fma_f32 v10, v151, v7, -v19
	v_mul_f64 v[6:7], v[20:21], s[0:1]
	v_cvt_f64_f32_e32 v[20:21], v25
	v_fma_f32 v2, v157, v3, -v2
	v_mov_b32_e32 v19, v22
	v_cvt_f64_f32_e32 v[25:26], v10
	ds_read2_b64 v[10:13], v164 offset0:154 offset1:231
	v_cvt_f64_f32_e32 v[27:28], v27
	v_cvt_f64_f32_e32 v[2:3], v2
	v_lshlrev_b64 v[18:19], 3, v[18:19]
	v_add_co_u32 v14, vcc_lo, s4, v14
	v_add_co_ci_u32_e32 v15, vcc_lo, s5, v15, vcc_lo
	v_fmac_f32_e32 v30, v153, v4
	v_add_co_u32 v14, vcc_lo, v14, v18
	v_add_co_ci_u32_e32 v15, vcc_lo, v15, v19, vcc_lo
	v_cvt_f32_f64_e32 v18, v[23:24]
	v_add_co_u32 v22, vcc_lo, v14, s3
	v_add_co_ci_u32_e32 v23, vcc_lo, s2, v15, vcc_lo
	v_cvt_f32_f64_e32 v19, v[6:7]
	v_mul_f64 v[6:7], v[20:21], s[0:1]
	s_waitcnt lgkmcnt(0)
	v_mul_f32_e32 v29, v148, v10
	v_mul_f64 v[20:21], v[25:26], s[0:1]
	v_mul_f32_e32 v26, v148, v11
	v_mul_f64 v[24:25], v[27:28], s[0:1]
	global_store_dwordx2 v[14:15], v[16:17], off
	global_store_dwordx2 v[22:23], v[18:19], off
	v_fmac_f32_e32 v26, v147, v10
	v_fma_f32 v28, v147, v11, -v29
	v_mul_f64 v[10:11], v[2:3], s[0:1]
	v_fma_f32 v2, v153, v5, -v31
	v_cvt_f64_f32_e32 v[30:31], v30
	v_cvt_f64_f32_e32 v[26:27], v26
	;; [unrolled: 1-line block ×3, first 2 shown]
	v_cvt_f32_f64_e32 v6, v[6:7]
	v_cvt_f64_f32_e32 v[14:15], v2
	ds_read2_b64 v[2:5], v0 offset0:2 offset1:79
	v_cvt_f32_f64_e32 v7, v[20:21]
	v_cvt_f32_f64_e32 v18, v[24:25]
	s_mul_hi_u32 s4, s8, 0xfffff190
	s_mul_i32 s5, s9, 0xfffff190
	s_sub_i32 s4, s4, s8
	v_mul_f32_e32 v32, v142, v13
	s_add_i32 s4, s4, s5
	s_mul_i32 s5, s8, 0xfffff190
	v_add_co_u32 v16, vcc_lo, v22, s5
	v_add_co_ci_u32_e32 v17, vcc_lo, s4, v23, vcc_lo
	v_fmac_f32_e32 v32, v141, v12
	v_cvt_f32_f64_e32 v19, v[10:11]
	v_mul_f32_e32 v10, v142, v12
	v_mul_f64 v[24:25], v[30:31], s[0:1]
	v_mul_f64 v[20:21], v[26:27], s[0:1]
	;; [unrolled: 1-line block ×3, first 2 shown]
	s_waitcnt lgkmcnt(0)
	v_mul_f32_e32 v28, v150, v3
	v_mul_f32_e32 v29, v150, v2
	v_fma_f32 v30, v141, v13, -v10
	ds_read2_b64 v[10:13], v1 offset0:52 offset1:129
	v_add_co_u32 v1, vcc_lo, v16, s3
	v_fmac_f32_e32 v28, v149, v2
	v_add_co_ci_u32_e32 v2, vcc_lo, s2, v17, vcc_lo
	v_fma_f32 v3, v149, v3, -v29
	global_store_dwordx2 v[16:17], v[6:7], off
	v_cvt_f64_f32_e32 v[26:27], v32
	v_cvt_f64_f32_e32 v[16:17], v28
	;; [unrolled: 1-line block ×4, first 2 shown]
	v_mul_f64 v[14:15], v[14:15], s[0:1]
	global_store_dwordx2 v[1:2], v[18:19], off
	v_cvt_f32_f64_e32 v18, v[20:21]
	v_add_co_u32 v20, vcc_lo, v1, s5
	v_add_co_ci_u32_e32 v21, vcc_lo, s4, v2, vcc_lo
	ds_read2_b64 v[0:3], v0 offset0:156 offset1:233
	s_waitcnt lgkmcnt(1)
	v_mul_f32_e32 v30, v133, v11
	v_mul_f32_e32 v31, v133, v10
	v_cvt_f32_f64_e32 v19, v[22:23]
	v_cvt_f32_f64_e32 v22, v[24:25]
	v_mul_f32_e32 v32, v137, v13
	v_fmac_f32_e32 v30, v132, v10
	v_fma_f32 v31, v132, v11, -v31
	v_mul_f64 v[24:25], v[26:27], s[0:1]
	v_mul_f64 v[10:11], v[16:17], s[0:1]
	v_mul_f32_e32 v33, v137, v12
	v_mul_f64 v[16:17], v[28:29], s[0:1]
	v_cvt_f64_f32_e32 v[26:27], v30
	v_cvt_f64_f32_e32 v[28:29], v31
	v_mul_f32_e32 v30, v139, v5
	v_mul_f32_e32 v31, v139, v4
	v_mul_f64 v[6:7], v[6:7], s[0:1]
	v_cvt_f32_f64_e32 v23, v[14:15]
	v_fmac_f32_e32 v32, v136, v12
	v_fmac_f32_e32 v30, v138, v4
	s_waitcnt lgkmcnt(0)
	v_mul_f32_e32 v34, v135, v1
	v_fma_f32 v31, v138, v5, -v31
	v_mul_f32_e32 v38, v146, v3
	v_mul_f32_e32 v39, v146, v2
	v_fma_f32 v33, v136, v13, -v33
	v_fmac_f32_e32 v34, v134, v0
	v_mul_f32_e32 v0, v135, v0
	v_cvt_f64_f32_e32 v[4:5], v30
	v_cvt_f64_f32_e32 v[12:13], v31
	v_fmac_f32_e32 v38, v145, v2
	v_fma_f32 v39, v145, v3, -v39
	v_fma_f32 v0, v134, v1, -v0
	v_cvt_f64_f32_e32 v[30:31], v32
	v_cvt_f64_f32_e32 v[32:33], v33
	;; [unrolled: 1-line block ×7, first 2 shown]
	v_add_co_u32 v14, vcc_lo, v20, s3
	v_add_co_ci_u32_e32 v15, vcc_lo, s2, v21, vcc_lo
	global_store_dwordx2 v[20:21], v[18:19], off
	global_store_dwordx2 v[14:15], v[22:23], off
	v_cvt_f32_f64_e32 v19, v[6:7]
	v_mul_f64 v[6:7], v[26:27], s[0:1]
	v_mul_f64 v[20:21], v[28:29], s[0:1]
	;; [unrolled: 1-line block ×4, first 2 shown]
	v_cvt_f32_f64_e32 v10, v[10:11]
	v_cvt_f32_f64_e32 v11, v[16:17]
	;; [unrolled: 1-line block ×3, first 2 shown]
	v_mul_f64 v[16:17], v[30:31], s[0:1]
	v_mul_f64 v[22:23], v[32:33], s[0:1]
	;; [unrolled: 1-line block ×7, first 2 shown]
	v_add_co_u32 v14, vcc_lo, v14, s5
	v_add_co_ci_u32_e32 v15, vcc_lo, s4, v15, vcc_lo
	v_add_co_u32 v30, vcc_lo, v14, s3
	v_add_co_ci_u32_e32 v31, vcc_lo, s2, v15, vcc_lo
	v_cvt_f32_f64_e32 v6, v[6:7]
	v_cvt_f32_f64_e32 v7, v[20:21]
	v_add_co_u32 v20, vcc_lo, v30, s5
	v_add_co_ci_u32_e32 v21, vcc_lo, s4, v31, vcc_lo
	v_cvt_f32_f64_e32 v4, v[4:5]
	v_cvt_f32_f64_e32 v5, v[12:13]
	;; [unrolled: 4-line block ×3, first 2 shown]
	v_cvt_f32_f64_e32 v22, v[24:25]
	v_cvt_f32_f64_e32 v23, v[0:1]
	;; [unrolled: 1-line block ×6, first 2 shown]
	v_add_co_u32 v8, vcc_lo, v12, s5
	v_add_co_ci_u32_e32 v9, vcc_lo, s4, v13, vcc_lo
	global_store_dwordx2 v[14:15], v[18:19], off
	v_add_co_u32 v14, vcc_lo, v8, s3
	v_add_co_ci_u32_e32 v15, vcc_lo, s2, v9, vcc_lo
	global_store_dwordx2 v[30:31], v[10:11], off
	;; [unrolled: 3-line block ×4, first 2 shown]
	global_store_dwordx2 v[8:9], v[16:17], off
	global_store_dwordx2 v[14:15], v[22:23], off
	;; [unrolled: 1-line block ×4, first 2 shown]
.LBB0_10:
	s_endpgm
	.section	.rodata,"a",@progbits
	.p2align	6, 0x0
	.amdhsa_kernel bluestein_single_fwd_len1078_dim1_sp_op_CI_CI
		.amdhsa_group_segment_fixed_size 25872
		.amdhsa_private_segment_fixed_size 0
		.amdhsa_kernarg_size 104
		.amdhsa_user_sgpr_count 6
		.amdhsa_user_sgpr_private_segment_buffer 1
		.amdhsa_user_sgpr_dispatch_ptr 0
		.amdhsa_user_sgpr_queue_ptr 0
		.amdhsa_user_sgpr_kernarg_segment_ptr 1
		.amdhsa_user_sgpr_dispatch_id 0
		.amdhsa_user_sgpr_flat_scratch_init 0
		.amdhsa_user_sgpr_private_segment_size 0
		.amdhsa_wavefront_size32 1
		.amdhsa_uses_dynamic_stack 0
		.amdhsa_system_sgpr_private_segment_wavefront_offset 0
		.amdhsa_system_sgpr_workgroup_id_x 1
		.amdhsa_system_sgpr_workgroup_id_y 0
		.amdhsa_system_sgpr_workgroup_id_z 0
		.amdhsa_system_sgpr_workgroup_info 0
		.amdhsa_system_vgpr_workitem_id 0
		.amdhsa_next_free_vgpr 230
		.amdhsa_next_free_sgpr 20
		.amdhsa_reserve_vcc 1
		.amdhsa_reserve_flat_scratch 0
		.amdhsa_float_round_mode_32 0
		.amdhsa_float_round_mode_16_64 0
		.amdhsa_float_denorm_mode_32 3
		.amdhsa_float_denorm_mode_16_64 3
		.amdhsa_dx10_clamp 1
		.amdhsa_ieee_mode 1
		.amdhsa_fp16_overflow 0
		.amdhsa_workgroup_processor_mode 1
		.amdhsa_memory_ordered 1
		.amdhsa_forward_progress 0
		.amdhsa_shared_vgpr_count 0
		.amdhsa_exception_fp_ieee_invalid_op 0
		.amdhsa_exception_fp_denorm_src 0
		.amdhsa_exception_fp_ieee_div_zero 0
		.amdhsa_exception_fp_ieee_overflow 0
		.amdhsa_exception_fp_ieee_underflow 0
		.amdhsa_exception_fp_ieee_inexact 0
		.amdhsa_exception_int_div_zero 0
	.end_amdhsa_kernel
	.text
.Lfunc_end0:
	.size	bluestein_single_fwd_len1078_dim1_sp_op_CI_CI, .Lfunc_end0-bluestein_single_fwd_len1078_dim1_sp_op_CI_CI
                                        ; -- End function
	.section	.AMDGPU.csdata,"",@progbits
; Kernel info:
; codeLenInByte = 18928
; NumSgprs: 22
; NumVgprs: 230
; ScratchSize: 0
; MemoryBound: 0
; FloatMode: 240
; IeeeMode: 1
; LDSByteSize: 25872 bytes/workgroup (compile time only)
; SGPRBlocks: 2
; VGPRBlocks: 28
; NumSGPRsForWavesPerEU: 22
; NumVGPRsForWavesPerEU: 230
; Occupancy: 4
; WaveLimiterHint : 1
; COMPUTE_PGM_RSRC2:SCRATCH_EN: 0
; COMPUTE_PGM_RSRC2:USER_SGPR: 6
; COMPUTE_PGM_RSRC2:TRAP_HANDLER: 0
; COMPUTE_PGM_RSRC2:TGID_X_EN: 1
; COMPUTE_PGM_RSRC2:TGID_Y_EN: 0
; COMPUTE_PGM_RSRC2:TGID_Z_EN: 0
; COMPUTE_PGM_RSRC2:TIDIG_COMP_CNT: 0
	.text
	.p2alignl 6, 3214868480
	.fill 48, 4, 3214868480
	.type	__hip_cuid_78120dc08020f899,@object ; @__hip_cuid_78120dc08020f899
	.section	.bss,"aw",@nobits
	.globl	__hip_cuid_78120dc08020f899
__hip_cuid_78120dc08020f899:
	.byte	0                               ; 0x0
	.size	__hip_cuid_78120dc08020f899, 1

	.ident	"AMD clang version 19.0.0git (https://github.com/RadeonOpenCompute/llvm-project roc-6.4.0 25133 c7fe45cf4b819c5991fe208aaa96edf142730f1d)"
	.section	".note.GNU-stack","",@progbits
	.addrsig
	.addrsig_sym __hip_cuid_78120dc08020f899
	.amdgpu_metadata
---
amdhsa.kernels:
  - .args:
      - .actual_access:  read_only
        .address_space:  global
        .offset:         0
        .size:           8
        .value_kind:     global_buffer
      - .actual_access:  read_only
        .address_space:  global
        .offset:         8
        .size:           8
        .value_kind:     global_buffer
      - .actual_access:  read_only
        .address_space:  global
        .offset:         16
        .size:           8
        .value_kind:     global_buffer
      - .actual_access:  read_only
        .address_space:  global
        .offset:         24
        .size:           8
        .value_kind:     global_buffer
      - .actual_access:  read_only
        .address_space:  global
        .offset:         32
        .size:           8
        .value_kind:     global_buffer
      - .offset:         40
        .size:           8
        .value_kind:     by_value
      - .address_space:  global
        .offset:         48
        .size:           8
        .value_kind:     global_buffer
      - .address_space:  global
        .offset:         56
        .size:           8
        .value_kind:     global_buffer
      - .address_space:  global
        .offset:         64
        .size:           8
        .value_kind:     global_buffer
      - .address_space:  global
        .offset:         72
        .size:           8
        .value_kind:     global_buffer
      - .offset:         80
        .size:           4
        .value_kind:     by_value
      - .address_space:  global
        .offset:         88
        .size:           8
        .value_kind:     global_buffer
      - .address_space:  global
        .offset:         96
        .size:           8
        .value_kind:     global_buffer
    .group_segment_fixed_size: 25872
    .kernarg_segment_align: 8
    .kernarg_segment_size: 104
    .language:       OpenCL C
    .language_version:
      - 2
      - 0
    .max_flat_workgroup_size: 231
    .name:           bluestein_single_fwd_len1078_dim1_sp_op_CI_CI
    .private_segment_fixed_size: 0
    .sgpr_count:     22
    .sgpr_spill_count: 0
    .symbol:         bluestein_single_fwd_len1078_dim1_sp_op_CI_CI.kd
    .uniform_work_group_size: 1
    .uses_dynamic_stack: false
    .vgpr_count:     230
    .vgpr_spill_count: 0
    .wavefront_size: 32
    .workgroup_processor_mode: 1
amdhsa.target:   amdgcn-amd-amdhsa--gfx1030
amdhsa.version:
  - 1
  - 2
...

	.end_amdgpu_metadata
